;; amdgpu-corpus repo=ROCm/aiter kind=harvested arch=n/a opt=n/a

/root/src/amdgpu-assembly/repos/ROCm__aiter/hsa/gfx942/pa_a16w8_b16.co:	file format elf64-amdgpu

Disassembly of section .text:

0000000000001900 <pa_kernel_func>:
	s_and_b32 s1, s1, 0xffff                                   // 000000001900: 8601FF01 0000FFFF
	s_load_dwordx2 s[8:9], s[0:1], 0x0                         // 000000001908: C0060200 00000000
	s_load_dwordx2 s[12:13], s[0:1], 0x10                      // 000000001910: C0060300 00000010
	s_load_dwordx2 s[16:17], s[0:1], 0x20                      // 000000001918: C0060400 00000020
	s_load_dwordx2 s[20:21], s[0:1], 0x30                      // 000000001920: C0060500 00000030
	s_load_dwordx2 s[24:25], s[0:1], 0x40                      // 000000001928: C0060600 00000040
	s_load_dwordx2 s[28:29], s[0:1], 0x50                      // 000000001930: C0060700 00000050
	s_load_dwordx2 s[32:33], s[0:1], 0x60                      // 000000001938: C0060800 00000060
	s_load_dwordx2 s[36:37], s[0:1], 0x70                      // 000000001940: C0060900 00000070
	s_load_dword s64, s[0:1], 0x80                             // 000000001948: C0021000 00000080
	s_load_dword s65, s[0:1], 0x90                             // 000000001950: C0021040 00000090
	s_load_dword s66, s[0:1], 0xa0                             // 000000001958: C0021080 000000A0
	s_load_dword s67, s[0:1], 0xb0                             // 000000001960: C00210C0 000000B0
	s_load_dword s68, s[0:1], 0xc0                             // 000000001968: C0021100 000000C0
	s_load_dword s69, s[0:1], 0xd0                             // 000000001970: C0021140 000000D0
	v_lshrrev_b32_e32 v1, 10, v0                               // 000000001978: 2002008A
	v_lshrrev_b32_e32 v2, 10, v1                               // 00000000197C: 2004028A
	v_and_b32_e32 v2, 0x3ff, v2                                // 000000001980: 260404FF 000003FF
	v_and_b32_e32 v1, 0x3ff, v1                                // 000000001988: 260202FF 000003FF
	v_and_b32_e32 v0, 0x3ff, v0                                // 000000001990: 260000FF 000003FF
	v_lshrrev_b32_e32 v3, 6, v0                                // 000000001998: 20060086
	v_and_b32_e32 v0, 63, v0                                   // 00000000199C: 260000BF
	s_mov_b32 s2, s2                                           // 0000000019A0: BE820002
	s_mov_b32 s3, s3                                           // 0000000019A4: BE830003
	s_mov_b32 s4, s4                                           // 0000000019A8: BE840004
	v_readfirstlane_b32 s7, v3                                 // 0000000019AC: 7E0E0503
	s_waitcnt lgkmcnt(0)                                       // 0000000019B0: BF8CC07F
	s_mul_i32 s60, s3, 4                                       // 0000000019B4: 923C8403
	s_and_b32 s29, s29, 0xffff                                 // 0000000019B8: 861DFF1D 0000FFFF
	s_add_u32 s28, s60, s28                                    // 0000000019C0: 801C1C3C
	s_addc_u32 s29, 0, s29                                     // 0000000019C4: 821D1D80
	s_load_dword s72, s[28:29], 0x0                            // 0000000019C8: C002120E 00000000
	s_mov_b32 s10, s67                                         // 0000000019D0: BE8A0043
	s_mov_b32 s14, s67                                         // 0000000019D4: BE8E0043
	s_mul_i32 s60, 4, s65                                      // 0000000019D8: 923C4184
	s_mov_b32 s26, s60                                         // 0000000019DC: BE9A003C
	s_mov_b32 s34, 0x80000000                                  // 0000000019E0: BEA200FF 80000000
	s_mov_b32 s38, 0x80000000                                  // 0000000019E8: BEA600FF 80000000
	s_mov_b32 s18, 0x80000000                                  // 0000000019F0: BE9200FF 80000000
	s_mov_b32 s22, 0x80000000                                  // 0000000019F8: BE9600FF 80000000
	s_mov_b32 s11, 0x20000                                     // 000000001A00: BE8B00FF 00020000
	s_mov_b32 s15, 0x20000                                     // 000000001A08: BE8F00FF 00020000
	s_mov_b32 s19, 0x20000                                     // 000000001A10: BE9300FF 00020000
	s_mov_b32 s23, 0x20000                                     // 000000001A18: BE9700FF 00020000
	s_mov_b32 s27, 0x20000                                     // 000000001A20: BE9B00FF 00020000
	s_mov_b32 s35, 0x20000                                     // 000000001A28: BEA300FF 00020000
	s_mov_b32 s39, 0x20000                                     // 000000001A30: BEA700FF 00020000
	s_and_b32 s9, s9, 0xffff                                   // 000000001A38: 8609FF09 0000FFFF
	s_and_b32 s13, s13, 0xffff                                 // 000000001A40: 860DFF0D 0000FFFF
	s_and_b32 s17, s17, 0xffff                                 // 000000001A48: 8611FF11 0000FFFF
	s_and_b32 s21, s21, 0xffff                                 // 000000001A50: 8615FF15 0000FFFF
	s_and_b32 s25, s25, 0xffff                                 // 000000001A58: 8619FF19 0000FFFF
	s_and_b32 s33, s33, 0xffff                                 // 000000001A60: 8621FF21 0000FFFF
	s_and_b32 s37, s37, 0xffff                                 // 000000001A68: 8625FF25 0000FFFF
	s_or_b32 s9, s9, 0x40000                                   // 000000001A70: 8709FF09 00040000
	s_or_b32 s13, s13, 0x40000                                 // 000000001A78: 870DFF0D 00040000
	s_or_b32 s17, s17, 0x40000                                 // 000000001A80: 8711FF11 00040000
	s_or_b32 s21, s21, 0x40000                                 // 000000001A88: 8715FF15 00040000
	s_or_b32 s25, s25, 0x40000                                 // 000000001A90: 8719FF19 00040000
	s_or_b32 s33, s33, 0x40000                                 // 000000001A98: 8721FF21 00040000
	s_or_b32 s37, s37, 0x40000                                 // 000000001AA0: 8725FF25 00040000
	v_accvgpr_write_b32 a255, 0                                // 000000001AA8: D3D940FF 18000080
	v_mov_b32_e32 v255, 0                                      // 000000001AB0: 7FFE0280
	s_mul_i32 s60, s3, s65                                     // 000000001AB4: 923C4103
	s_mul_i32 s60, s60, 4                                      // 000000001AB8: 923C843C
	s_add_u32 s24, s60, s24                                    // 000000001ABC: 8018183C
	s_addc_u32 s25, 0, s25                                     // 000000001AC0: 82191980
	s_mov_b32 s56, 64                                          // 000000001AC4: BEB800C0
	s_waitcnt lgkmcnt(0)                                       // 000000001AC8: BF8CC07F
	s_add_u32 s73, s72, 15                                     // 000000001ACC: 80498F48
	s_lshr_b32 s73, s73, 4                                     // 000000001AD0: 8F498449
	s_mul_i32 s60, s73, 4                                      // 000000001AD4: 923C8449
	s_mov_b32 s26, s60                                         // 000000001AD8: BE9A003C
	v_and_b32_e32 v39, 3, v0                                   // 000000001ADC: 264E0083
	v_cmp_eq_u32_e64 s[60:61], 0, v39                          // 000000001AE0: D0CA003C 00024E80
	v_and_b32_e32 v38, 12, v0                                  // 000000001AE8: 264C008C
	v_add_u32_e32 v1, s7, v38                                  // 000000001AEC: 68024C07
	v_cndmask_b32_e64 v1, 0, v1, s[60:61]                      // 000000001AF0: D1000001 00F20280
	v_and_b32_e32 v39, 3, v0                                   // 000000001AF8: 264E0083
	v_cmp_eq_u32_e64 s[60:61], 1, v39                          // 000000001AFC: D0CA003C 00024E81
	v_lshrrev_b32_e32 v38, 4, v0                               // 000000001B04: 204C0084
	v_and_b32_e32 v39, 12, v0                                  // 000000001B08: 264E008C
	v_add_u32_e32 v38, v39, v38                                // 000000001B0C: 684C4D27
	v_cndmask_b32_e64 v38, 0, v38, s[60:61]                    // 000000001B10: D1000026 00F24C80
	v_add_u32_e32 v1, v1, v38                                  // 000000001B18: 68024D01
	v_lshlrev_b32_e32 v1, 2, v1                                // 000000001B1C: 24020282
	buffer_load_dword v16, v1, s[24:27], 0 offen               // 000000001B20: E0501000 80061001
	v_add_u32_e32 v1, s56, v1                                  // 000000001B28: 68020238
	buffer_load_dword v17, v1, s[24:27], 0 offen               // 000000001B2C: E0501000 80061101
	s_cmp_le_u32 s73, 32                                       // 000000001B34: BF0BA049
	s_cselect_b32 s56, 0, s56                                  // 000000001B38: 85383880
	s_mul_i32 s60, s3, s67                                     // 000000001B3C: 923C4303
	s_add_u32 s12, s60, s12                                    // 000000001B40: 800C0C3C
	s_addc_u32 s13, 0, s13                                     // 000000001B44: 820D0D80
	s_mul_i32 s60, s7, 0x108                                   // 000000001B48: 923CFF07 00000108
	s_add_u32 m0, 0, s60                                       // 000000001B50: 807C3C80
	s_mul_i32 s60, s7, 0x100                                   // 000000001B54: 923CFF07 00000100
	v_lshlrev_b32_e32 v38, 2, v0                               // 000000001B5C: 244C0082
	v_add_u32_e64 v38, v38, s60                                // 000000001B60: D1340026 00007926
	buffer_load_dword v38, s[12:15], 0 offen lds               // 000000001B68: E0511000 80030026
	s_mul_i32 s60, 4, 0x108                                    // 000000001B70: 923CFF84 00000108
	s_add_u32 m0, m0, s60                                      // 000000001B78: 807C3C7C
	v_add_u32_e32 v38, 0x400, v38                              // 000000001B7C: 684C4CFF 00000400
	buffer_load_dword v38, s[12:15], 0 offen lds               // 000000001B84: E0511000 80030026
	s_mul_i32 s60, 4, 0x108                                    // 000000001B8C: 923CFF84 00000108
	s_add_u32 m0, m0, s60                                      // 000000001B94: 807C3C7C
	v_add_u32_e32 v38, 0x400, v38                              // 000000001B98: 684C4CFF 00000400
	s_mul_i32 s60, s7, 0x108                                   // 000000001BA0: 923CFF07 00000108
	v_lshlrev_b32_e32 v38, 2, v0                               // 000000001BA8: 244C0082
	v_add_u32_e64 v38, v38, s60                                // 000000001BAC: D1340026 00007926
	v_mov_b32_e32 v39, 0                                       // 000000001BB4: 7E4E0280
	ds_write_b32 v38, v39 offset:2112                          // 000000001BB8: D81A0840 00002726
	ds_write_b32 v38, v39 offset:3168                          // 000000001BC0: D81A0C60 00002726
	v_lshrrev_b32_e32 v38, 4, v0                               // 000000001BC8: 204C0084
	v_lshlrev_b32_e32 v38, 2, v38                              // 000000001BCC: 244C4C82
	v_and_b32_e32 v39, 3, v0                                   // 000000001BD0: 264E0083
	v_add_u32_e32 v38, v39, v38                                // 000000001BD4: 684C4D27
	v_lshlrev_b32_e32 v57, 2, v38                              // 000000001BD8: 24724C82
	v_mov_b32_e32 v58, v57                                     // 000000001BDC: 7E740339
	s_mul_i32 s60, s3, s67                                     // 000000001BE0: 923C4303
	s_add_u32 s8, s60, s8                                      // 000000001BE4: 8008083C
	s_addc_u32 s9, 0, s9                                       // 000000001BE8: 82090980
	s_mul_i32 s60, s7, 0x100                                   // 000000001BEC: 923CFF07 00000100
	v_lshlrev_b32_e32 v8, 2, v0                                // 000000001BF4: 24100082
	v_add_u32_e64 v8, v8, s60                                  // 000000001BF8: D1340008 00007908
	s_mov_b32 s70, 0                                           // 000000001C00: BEC60080
	s_and_b32 s71, s72, 0xffffff00                             // 000000001C04: 8647FF48 FFFFFF00
	s_mov_b32 s42, 0xff00ff00                                  // 000000001C0C: BEAA00FF FF00FF00
	s_mov_b32 s43, 0xff00ff00                                  // 000000001C14: BEAB00FF FF00FF00
	s_mov_b32 s44, 0xf0f0f0f0                                  // 000000001C1C: BEAC00FF F0F0F0F0
	s_mov_b32 s45, 0xf0f0f0f0                                  // 000000001C24: BEAD00FF F0F0F0F0
	v_mov_b32_e32 v61, 64                                      // 000000001C2C: 7E7A02C0
	v_mov_b32_e32 v51, s68                                     // 000000001C30: 7E660244
	v_mov_b32_e32 v9, -1                                       // 000000001C34: 7E1202C1
	s_mov_b32 s52, 0x7060302                                   // 000000001C38: BEB400FF 07060302
	s_mov_b32 s53, 0x400                                       // 000000001C40: BEB500FF 00000400
	s_mov_b32 s54, 0x40100                                     // 000000001C48: BEB600FF 00040100
	s_mov_b32 s55, 0x4020100                                   // 000000001C50: BEB700FF 04020100
	v_mov_b32_dpp v9, v9 row_shl:8 row_mask:0xf bank_mask:0xf bound_ctrl:1// 000000001C58: 7E1202FA FF090809
	s_mov_b32 s6, 0x3fb8aa3b                                   // 000000001C60: BE8600FF 3FB8AA3B
	v_mov_b32_e32 v14, 0xff800000                              // 000000001C68: 7E1C02FF FF800000
	v_mov_b32_e32 v52, 0xff800000                              // 000000001C70: 7E6802FF FF800000
	v_mov_b32_e32 v49, 0                                       // 000000001C78: 7E620280
	v_mov_b32_e32 v42, 0                                       // 000000001C7C: 7E540280
	v_mov_b32_e32 v47, 0                                       // 000000001C80: 7E5E0280
	v_mov_b32_e32 v19, 0xffff0000                              // 000000001C84: 7E2602FF FFFF0000
	v_mov_b32_e32 v20, 0x7fff0000                              // 000000001C8C: 7E2802FF 7FFF0000
	v_mov_b32_e32 v21, 0x7fff                                  // 000000001C94: 7E2A02FF 00007FFF
	v_add_u32_e32 v1, s56, v1                                  // 000000001C9C: 68020238
	v_and_b32_e32 v10, 15, v0                                  // 000000001CA0: 2614008F
	v_lshlrev_b32_e32 v10, 2, v10                              // 000000001CA4: 24141482
	v_lshlrev_b32_e32 v11, 2, v0                               // 000000001CA8: 24160082
	s_mul_i32 s60, 0x100, s7                                   // 000000001CAC: 923C07FF 00000100
	v_add_u32_e32 v11, s60, v11                                // 000000001CB4: 6816163C
	v_lshrrev_b32_e32 v38, 4, v0                               // 000000001CB8: 204C0084
	v_lshlrev_b32_e32 v39, 6, v38                              // 000000001CBC: 244E4C86
	v_and_b32_e32 v38, 15, v0                                  // 000000001CC0: 264C008F
	v_lshlrev_b32_e32 v38, 1, v38                              // 000000001CC4: 244C4C81
	v_add_u32_e32 v39, v38, v39                                // 000000001CC8: 684E4F26
	v_lshlrev_b32_e32 v12, 2, v39                              // 000000001CCC: 24184E82
	v_lshrrev_b32_e32 v38, 5, v0                               // 000000001CD0: 204C0085
	v_lshlrev_b32_e32 v39, 5, v38                              // 000000001CD4: 244E4C85
	v_and_b32_e32 v38, 31, v0                                  // 000000001CD8: 264C009F
	v_lshrrev_b32_e32 v40, 4, v38                              // 000000001CDC: 20504C84
	v_add_u32_e32 v39, v40, v39                                // 000000001CE0: 684E4F28
	v_and_b32_e32 v38, 15, v0                                  // 000000001CE4: 264C008F
	v_lshlrev_b32_e32 v38, 1, v38                              // 000000001CE8: 244C4C81
	v_add_u32_e32 v39, v38, v39                                // 000000001CEC: 684E4F26
	v_lshlrev_b32_e32 v38, 2, v39                              // 000000001CF0: 244C4E82
	s_mul_i32 s60, 0x100, s7                                   // 000000001CF4: 923C07FF 00000100
	v_add_u32_e64 v13, v38, s60                                // 000000001CFC: D134000D 00007926
	v_lshlrev_b32_e32 v6, 4, v0                                // 000000001D04: 240C0084
	v_and_b32_e32 v38, 15, v0                                  // 000000001D08: 264C008F
	v_lshlrev_b32_e32 v7, 4, v38                               // 000000001D0C: 240E4C84
	s_mul_i32 s60, s7, 0x100                                   // 000000001D10: 923CFF07 00000100
	s_add_u32 s20, s60, s20                                    // 000000001D18: 8014143C
	s_addc_u32 s21, 0, s21                                     // 000000001D1C: 82151580
	s_waitcnt vmcnt(2)                                         // 000000001D20: BF8C0F72
	v_mul_u32_u24_dpp v38, v16, v51 row_newbcast:0 row_mask:0xf bank_mask:0xf// 000000001D24: 104C66FA FF015010
	v_mul_u32_u24_dpp v39, v16, v51 row_newbcast:4 row_mask:0xf bank_mask:0xf// 000000001D2C: 104E66FA FF015410
	v_mul_u32_u24_dpp v40, v16, v51 row_newbcast:8 row_mask:0xf bank_mask:0xf// 000000001D34: 105066FA FF015810
	v_mul_u32_u24_dpp v41, v16, v51 row_newbcast:12 row_mask:0xf bank_mask:0xf// 000000001D3C: 105266FA FF015C10
	v_add_u32_e32 v22, v38, v6                                 // 000000001D44: 682C0D26
	v_add_u32_e32 v23, v39, v6                                 // 000000001D48: 682E0D27
	v_add_u32_e32 v24, v40, v6                                 // 000000001D4C: 68300D28
	v_add_u32_e32 v25, v41, v6                                 // 000000001D50: 68320D29
	v_mul_u32_u24_dpp v38, v16, v51 row_newbcast:1 row_mask:0xf bank_mask:0xf// 000000001D54: 104C66FA FF015110
	v_mul_u32_u24_dpp v39, v16, v51 row_newbcast:5 row_mask:0xf bank_mask:0xf// 000000001D5C: 104E66FA FF015510
	v_mul_u32_u24_dpp v40, v16, v51 row_newbcast:9 row_mask:0xf bank_mask:0xf// 000000001D64: 105066FA FF015910
	v_mul_u32_u24_dpp v41, v16, v51 row_newbcast:13 row_mask:0xf bank_mask:0xf// 000000001D6C: 105266FA FF015D10
	v_add_u32_e32 v30, v38, v7                                 // 000000001D74: 683C0F26
	v_add_u32_e32 v31, v39, v7                                 // 000000001D78: 683E0F27
	v_add_u32_e32 v32, v40, v7                                 // 000000001D7C: 68400F28
	v_add_u32_e32 v33, v41, v7                                 // 000000001D80: 68420F29
	v_mul_u32_u24_dpp v38, v16, v61 quad_perm:[0,0,0,0] row_mask:0xf bank_mask:0xf// 000000001D84: 104C7AFA FF000010
	v_add_u32_e32 v2, v38, v57                                 // 000000001D8C: 68047326
	v_mul_u32_u24_dpp v38, v16, v61 quad_perm:[0,0,0,0] row_mask:0xf bank_mask:0xf// 000000001D90: 104C7AFA FF000010
	v_add_u32_e32 v53, v38, v58                                // 000000001D98: 686A7526
	buffer_load_dword v44, v2, s[32:35], 0 offen               // 000000001D9C: E0501000 80082C02
	buffer_load_dwordx4 a[0:3], v22, s[16:19], 0 offen         // 000000001DA4: E05C1000 80840016
	buffer_load_dwordx4 a[4:7], v22, s[16:19], 0 offen offset:1024// 000000001DAC: E05C1400 80840416
	buffer_load_dwordx4 a[8:11], v23, s[16:19], 0 offen        // 000000001DB4: E05C1000 80840817
	buffer_load_dwordx4 a[12:15], v23, s[16:19], 0 offen offset:1024// 000000001DBC: E05C1400 80840C17
	buffer_load_dwordx4 a[16:19], v24, s[16:19], 0 offen       // 000000001DC4: E05C1000 80841018
	buffer_load_dwordx4 a[20:23], v24, s[16:19], 0 offen offset:1024// 000000001DCC: E05C1400 80841418
	buffer_load_dwordx4 a[24:27], v25, s[16:19], 0 offen       // 000000001DD4: E05C1000 80841819
	buffer_load_dwordx4 a[28:31], v25, s[16:19], 0 offen offset:1024// 000000001DDC: E05C1400 80841C19
	buffer_load_dword v55, v53, s[36:39], 0 offen              // 000000001DE4: E0501000 80093735
	buffer_load_dwordx4 a[64:67], v30, s[20:23], 0 offen       // 000000001DEC: E05C1000 8085401E
	buffer_load_dwordx4 a[68:71], v31, s[20:23], 0 offen       // 000000001DF4: E05C1000 8085441F
	buffer_load_dwordx4 a[72:75], v32, s[20:23], 0 offen       // 000000001DFC: E05C1000 80854820
	buffer_load_dwordx4 a[76:79], v33, s[20:23], 0 offen       // 000000001E04: E05C1000 80854C21
	buffer_load_dwordx4 a[80:83], v30, s[20:23], 0 offen offset:1024// 000000001E0C: E05C1400 8085501E
	buffer_load_dwordx4 a[84:87], v31, s[20:23], 0 offen offset:1024// 000000001E14: E05C1400 8085541F
	buffer_load_dwordx4 a[88:91], v32, s[20:23], 0 offen offset:1024// 000000001E1C: E05C1400 80855820
	buffer_load_dwordx4 a[92:95], v33, s[20:23], 0 offen offset:1024// 000000001E24: E05C1400 80855C21
	v_lshrrev_b32_e32 v38, 4, v0                               // 000000001E2C: 204C0084
	v_lshlrev_b32_e32 v39, 1, v38                              // 000000001E30: 244E4C81
	v_and_b32_e32 v38, 15, v0                                  // 000000001E34: 264C008F
	v_mul_i32_i24_e32 v38, 0x42, v38                           // 000000001E38: 0C4C4CFF 00000042
	v_add_u32_e32 v39, v38, v39                                // 000000001E40: 684E4F26
	v_lshlrev_b32_e32 v4, 2, v39                               // 000000001E44: 24084E82
	s_mul_i32 s60, s7, 32                                      // 000000001E48: 923CA007
	v_add_u32_e32 v4, s60, v4                                  // 000000001E4C: 6808083C
	s_waitcnt vmcnt(16) lgkmcnt(0)                             // 000000001E50: BF8C4070
	s_barrier                                                  // 000000001E54: BF8A0000
	ds_read_b64 v[80:81], v4                                   // 000000001E58: D8EC0000 50000004
	ds_read_b64 v[84:85], v4 offset:128                        // 000000001E60: D8EC0080 54000004
	s_waitcnt lgkmcnt(0)                                       // 000000001E68: BF8CC07F
	v_and_b32_e32 v83, 0xffff0000, v81                         // 000000001E6C: 26A6A2FF FFFF0000
	v_lshlrev_b32_e32 v82, 16, v81                             // 000000001E74: 24A4A290
	v_and_b32_e32 v81, 0xffff0000, v80                         // 000000001E78: 26A2A0FF FFFF0000
	v_lshlrev_b32_e32 v80, 16, v80                             // 000000001E80: 24A0A090
	v_and_b32_e32 v87, 0xffff0000, v85                         // 000000001E84: 26AEAAFF FFFF0000
	v_lshlrev_b32_e32 v86, 16, v85                             // 000000001E8C: 24ACAA90
	v_and_b32_e32 v85, 0xffff0000, v84                         // 000000001E90: 26AAA8FF FFFF0000
	v_lshlrev_b32_e32 v84, 16, v84                             // 000000001E98: 24A8A890
	v_mov_b32_e32 v48, 0x358637bd                              // 000000001E9C: 7E6002FF 358637BD
	v_max3_f32 v48, |v80|, |v81|, v48                          // 000000001EA4: D1D30330 04C2A350
	v_max3_f32 v48, |v82|, |v83|, v48                          // 000000001EAC: D1D30330 04C2A752
	v_max3_f32 v48, |v84|, |v85|, v48                          // 000000001EB4: D1D30330 04C2AB54
	v_max3_f32 v48, |v86|, |v87|, v48                          // 000000001EBC: D1D30330 04C2AF56
	ds_write_b32 v11, v48 offset:4224                          // 000000001EC4: D81A1080 0000300B
	s_waitcnt lgkmcnt(0)                                       // 000000001ECC: BF8CC07F
	s_barrier                                                  // 000000001ED0: BF8A0000
	ds_read_b32 v64, v10 offset:4224                           // 000000001ED4: D86C1080 4000000A
	ds_read_b32 v65, v10 offset:4288                           // 000000001EDC: D86C10C0 4100000A
	ds_read_b32 v66, v10 offset:4352                           // 000000001EE4: D86C1100 4200000A
	ds_read_b32 v67, v10 offset:4416                           // 000000001EEC: D86C1140 4300000A
	ds_read_b32 v68, v10 offset:4480                           // 000000001EF4: D86C1180 4400000A
	ds_read_b32 v69, v10 offset:4544                           // 000000001EFC: D86C11C0 4500000A
	ds_read_b32 v70, v10 offset:4608                           // 000000001F04: D86C1200 4600000A
	ds_read_b32 v71, v10 offset:4672                           // 000000001F0C: D86C1240 4700000A
	ds_read_b32 v72, v10 offset:4736                           // 000000001F14: D86C1280 4800000A
	ds_read_b32 v73, v10 offset:4800                           // 000000001F1C: D86C12C0 4900000A
	ds_read_b32 v74, v10 offset:4864                           // 000000001F24: D86C1300 4A00000A
	ds_read_b32 v75, v10 offset:4928                           // 000000001F2C: D86C1340 4B00000A
	ds_read_b32 v76, v10 offset:4992                           // 000000001F34: D86C1380 4C00000A
	ds_read_b32 v77, v10 offset:5056                           // 000000001F3C: D86C13C0 4D00000A
	ds_read_b32 v78, v10 offset:5120                           // 000000001F44: D86C1400 4E00000A
	ds_read_b32 v79, v10 offset:5184                           // 000000001F4C: D86C1440 4F00000A
	s_waitcnt lgkmcnt(0)                                       // 000000001F54: BF8CC07F
	v_max3_f32 v48, |v64|, |v65|, v48                          // 000000001F58: D1D30330 04C28340
	v_max3_f32 v48, |v66|, |v67|, v48                          // 000000001F60: D1D30330 04C28742
	v_max3_f32 v48, |v68|, |v69|, v48                          // 000000001F68: D1D30330 04C28B44
	v_max3_f32 v48, |v70|, |v71|, v48                          // 000000001F70: D1D30330 04C28F46
	v_max3_f32 v48, |v72|, |v73|, v48                          // 000000001F78: D1D30330 04C29348
	v_max3_f32 v48, |v74|, |v75|, v48                          // 000000001F80: D1D30330 04C2974A
	v_max3_f32 v48, |v76|, |v77|, v48                          // 000000001F88: D1D30330 04C29B4C
	v_max3_f32 v48, |v78|, |v79|, v48                          // 000000001F90: D1D30330 04C29F4E
	v_rcp_f32_e32 v48, v48                                     // 000000001F98: 7E604530
	s_nop 1                                                    // 000000001F9C: BF800001
	v_mul_f32_e32 v48, 0x42fe0000, v48                         // 000000001FA0: 0A6060FF 42FE0000
	v_mul_f32_e32 v80, v48, v80                                // 000000001FA8: 0AA0A130
	v_mul_f32_e32 v81, v48, v81                                // 000000001FAC: 0AA2A330
	v_mul_f32_e32 v82, v48, v82                                // 000000001FB0: 0AA4A530
	v_mul_f32_e32 v83, v48, v83                                // 000000001FB4: 0AA6A730
	v_mul_f32_e32 v84, v48, v84                                // 000000001FB8: 0AA8A930
	v_mul_f32_e32 v85, v48, v85                                // 000000001FBC: 0AAAAB30
	v_mul_f32_e32 v86, v48, v86                                // 000000001FC0: 0AACAD30
	v_mul_f32_e32 v87, v48, v87                                // 000000001FC4: 0AAEAF30
	v_cvt_i32_f32_e32 v80, v80                                 // 000000001FC8: 7EA01150
	v_cvt_i32_f32_e32 v81, v81                                 // 000000001FCC: 7EA21151
	v_cvt_i32_f32_e32 v82, v82                                 // 000000001FD0: 7EA41152
	v_cvt_i32_f32_e32 v83, v83                                 // 000000001FD4: 7EA61153
	v_cvt_i32_f32_e32 v84, v84                                 // 000000001FD8: 7EA81154
	v_cvt_i32_f32_e32 v85, v85                                 // 000000001FDC: 7EAA1155
	v_cvt_i32_f32_e32 v86, v86                                 // 000000001FE0: 7EAC1156
	v_cvt_i32_f32_e32 v87, v87                                 // 000000001FE4: 7EAE1157
	v_rcp_f32_e32 v46, v48                                     // 000000001FE8: 7E5C4530
	v_perm_b32 v80, v81, v80, s53                              // 000000001FEC: D1ED0050 00D6A151
	v_perm_b32 v80, v82, v80, s54                              // 000000001FF4: D1ED0050 00DAA152
	v_perm_b32 v80, v83, v80, s55                              // 000000001FFC: D1ED0050 00DEA153
	v_perm_b32 v81, v85, v84, s53                              // 000000002004: D1ED0051 00D6A955
	v_perm_b32 v81, v86, v81, s54                              // 00000000200C: D1ED0051 00DAA356
	v_perm_b32 v81, v87, v81, s55                              // 000000002014: D1ED0051 00DEA357
	ds_write_b32 v13, v80 offset:6272                          // 00000000201C: D81A1880 0000500D
	ds_write_b32 v13, v81 offset:7296                          // 000000002024: D81A1C80 0000510D
	s_waitcnt lgkmcnt(0)                                       // 00000000202C: BF8CC07F
	s_barrier                                                  // 000000002030: BF8A0000
	v_and_b32_e32 v46, v9, v46                                 // 000000002034: 265C5D09
	ds_read_b64 v[80:81], v12 offset:6272                      // 000000002038: D8EC1880 5000000C
	ds_read_b64 v[82:83], v12 offset:6400                      // 000000002040: D8EC1900 5200000C
	ds_read_b64 v[84:85], v12 offset:7296                      // 000000002048: D8EC1C80 5400000C
	ds_read_b64 v[86:87], v12 offset:7424                      // 000000002050: D8EC1D00 5600000C
	v_mov_b32_e32 v112, 0                                      // 000000002058: 7EE00280
	v_mov_b32_e32 v113, 0                                      // 00000000205C: 7EE20280
	v_mov_b32_e32 v114, 0                                      // 000000002060: 7EE40280
	v_mov_b32_e32 v115, 0                                      // 000000002064: 7EE60280
	v_mov_b32_e32 v104, 0                                      // 000000002068: 7ED00280
	v_mov_b32_e32 v105, 0                                      // 00000000206C: 7ED20280
	v_mov_b32_e32 v106, 0                                      // 000000002070: 7ED40280
	v_mov_b32_e32 v107, 0                                      // 000000002074: 7ED60280
	v_mov_b32_e32 v108, 0                                      // 000000002078: 7ED80280
	v_mov_b32_e32 v109, 0                                      // 00000000207C: 7EDA0280
	v_mov_b32_e32 v110, 0                                      // 000000002080: 7EDC0280
	v_mov_b32_e32 v111, 0                                      // 000000002084: 7EDE0280
	v_or_b32_dpp v46, v46, v46 row_shr:8 row_mask:0xf bank_mask:0xf bound_ctrl:1// 000000002088: 285C5CFA FF09182E
	s_waitcnt vmcnt(8) lgkmcnt(0)                              // 000000002090: BF8C0078
	s_barrier                                                  // 000000002094: BF8A0000
	s_cmp_lt_u32 s73, 16                                       // 000000002098: BF0A9049
	s_cbranch_scc1 label_09B7                                  // 00000000209C: BF8507CF
	s_cmp_lt_i32 s7, 2                                         // 0000000020A0: BF048207
	s_cbranch_scc0 label_05D2                                  // 0000000020A4: BF8403E8

00000000000020a8 <label_01EA>:
	s_waitcnt vmcnt(8) lgkmcnt(0)                              // 0000000020A8: BF8C0078
	v_mul_u32_u24_dpp v38, v17, v51 row_newbcast:0 row_mask:0xf bank_mask:0xf// 0000000020AC: 104C66FA FF015011
	v_mul_u32_u24_dpp v39, v17, v51 row_newbcast:4 row_mask:0xf bank_mask:0xf// 0000000020B4: 104E66FA FF015411
	v_mul_u32_u24_dpp v40, v17, v51 row_newbcast:8 row_mask:0xf bank_mask:0xf// 0000000020BC: 105066FA FF015811
	v_mul_u32_u24_dpp v41, v17, v51 row_newbcast:12 row_mask:0xf bank_mask:0xf// 0000000020C4: 105266FA FF015C11
	v_add_u32_e32 v26, v38, v6                                 // 0000000020CC: 68340D26
	v_add_u32_e32 v27, v39, v6                                 // 0000000020D0: 68360D27
	v_add_u32_e32 v28, v40, v6                                 // 0000000020D4: 68380D28
	v_add_u32_e32 v29, v41, v6                                 // 0000000020D8: 683A0D29
	v_mul_u32_u24_dpp v38, v17, v61 quad_perm:[0,0,0,0] row_mask:0xf bank_mask:0xf// 0000000020DC: 104C7AFA FF000011
	v_add_u32_e32 v3, v38, v57                                 // 0000000020E4: 68067326
	v_mul_u32_u24_dpp v38, v17, v61 quad_perm:[0,0,0,0] row_mask:0xf bank_mask:0xf// 0000000020E8: 104C7AFA FF000011
	v_add_u32_e32 v54, v38, v58                                // 0000000020F0: 686C7526
	v_mfma_i32_16x16x32_i8 v[88:91], a[0:1], v[80:81], 0       // 0000000020F4: D3D70058 0A02A100
	v_mfma_i32_16x16x32_i8 v[88:91], a[2:3], v[82:83], v[88:91]// 0000000020FC: D3D70058 0D62A502
	buffer_load_dwordx4 a[32:35], v26, s[16:19], 0 offen       // 000000002104: E05C1000 8084201A
	v_mfma_i32_16x16x32_i8 v[88:91], a[4:5], v[84:85], v[88:91]// 00000000210C: D3D70058 0D62A904
	v_mfma_i32_16x16x32_i8 v[88:91], a[6:7], v[86:87], v[88:91]// 000000002114: D3D70058 0D62AD06
	buffer_load_dword v16, v1, s[24:27], 0 offen               // 00000000211C: E0501000 80061001
	v_mfma_i32_16x16x32_i8 v[92:95], a[8:9], v[80:81], 0       // 000000002124: D3D7005C 0A02A108
	v_mfma_i32_16x16x32_i8 v[92:95], a[10:11], v[82:83], v[92:95]// 00000000212C: D3D7005C 0D72A50A
	buffer_load_dwordx4 a[36:39], v26, s[16:19], 0 offen offset:1024// 000000002134: E05C1400 8084241A
	v_mfma_i32_16x16x32_i8 v[92:95], a[12:13], v[84:85], v[92:95]// 00000000213C: D3D7005C 0D72A90C
	v_mfma_i32_16x16x32_i8 v[92:95], a[14:15], v[86:87], v[92:95]// 000000002144: D3D7005C 0D72AD0E
	v_mfma_i32_16x16x32_i8 v[96:99], a[16:17], v[80:81], 0     // 00000000214C: D3D70060 0A02A110
	v_mfma_i32_16x16x32_i8 v[96:99], a[18:19], v[82:83], v[96:99]// 000000002154: D3D70060 0D82A512
	buffer_load_dwordx4 a[40:43], v27, s[16:19], 0 offen       // 00000000215C: E05C1000 8084281B
	v_mfma_i32_16x16x32_i8 v[96:99], a[20:21], v[84:85], v[96:99]// 000000002164: D3D70060 0D82A914
	v_mfma_i32_16x16x32_i8 v[96:99], a[22:23], v[86:87], v[96:99]// 00000000216C: D3D70060 0D82AD16
	v_mfma_i32_16x16x32_i8 v[100:103], a[24:25], v[80:81], 0   // 000000002174: D3D70064 0A02A118
	v_mfma_i32_16x16x32_i8 v[100:103], a[26:27], v[82:83], v[100:103]// 00000000217C: D3D70064 0D92A51A
	buffer_load_dwordx4 a[44:47], v27, s[16:19], 0 offen offset:1024// 000000002184: E05C1400 80842C1B
	v_mfma_i32_16x16x32_i8 v[100:103], a[28:29], v[84:85], v[100:103]// 00000000218C: D3D70064 0D92A91C
	v_mfma_i32_16x16x32_i8 v[100:103], a[30:31], v[86:87], v[100:103]// 000000002194: D3D70064 0D92AD1E
	buffer_load_dword v45, v3, s[32:35], 0 offen               // 00000000219C: E0501000 80082D03
	v_mov_b32_dpp v38, v44 row_shr:4 row_mask:0xf bank_mask:0xf// 0000000021A4: 7E4C02FA FF01142C
	v_mov_b32_dpp v39, v44 row_shl:4 row_mask:0xf bank_mask:0xf// 0000000021AC: 7E4E02FA FF01042C
	v_cndmask_b32_e64 v124, v44, v38, s[44:45]                 // 0000000021B4: D100007C 00B24D2C
	v_cndmask_b32_e64 v125, v39, v44, s[44:45]                 // 0000000021BC: D100007D 00B25927
	v_mov_b32_dpp v38, v55 row_shr:4 row_mask:0xf bank_mask:0xf// 0000000021C4: 7E4C02FA FF011437
	v_mov_b32_dpp v39, v55 row_shl:4 row_mask:0xf bank_mask:0xf// 0000000021CC: 7E4E02FA FF010437
	v_cndmask_b32_e64 v126, v55, v38, s[44:45]                 // 0000000021D4: D100007E 00B24D37
	v_cndmask_b32_e64 v127, v39, v55, s[44:45]                 // 0000000021DC: D100007F 00B26F27
	v_or_b32_dpp v88, v96, v88 row_shr:8 row_mask:0xf bank_mask:0xf bound_ctrl:1// 0000000021E4: 28B0B0FA FF091860
	v_or_b32_dpp v89, v97, v89 row_shr:8 row_mask:0xf bank_mask:0xf bound_ctrl:1// 0000000021EC: 28B2B2FA FF091861
	v_or_b32_dpp v90, v98, v90 row_shr:8 row_mask:0xf bank_mask:0xf bound_ctrl:1// 0000000021F4: 28B4B4FA FF091862
	v_or_b32_dpp v91, v99, v91 row_shr:8 row_mask:0xf bank_mask:0xf bound_ctrl:1// 0000000021FC: 28B6B6FA FF091863
	v_or_b32_dpp v92, v100, v92 row_shr:8 row_mask:0xf bank_mask:0xf bound_ctrl:1// 000000002204: 28B8B8FA FF091864
	v_or_b32_dpp v93, v101, v93 row_shr:8 row_mask:0xf bank_mask:0xf bound_ctrl:1// 00000000220C: 28BABAFA FF091865
	v_or_b32_dpp v94, v102, v94 row_shr:8 row_mask:0xf bank_mask:0xf bound_ctrl:1// 000000002214: 28BCBCFA FF091866
	v_or_b32_dpp v95, v103, v95 row_shr:8 row_mask:0xf bank_mask:0xf bound_ctrl:1// 00000000221C: 28BEBEFA FF091867
	buffer_load_dword v56, v54, s[36:39], 0 offen              // 000000002224: E0501000 80093836
	v_cvt_f32_i32_e32 v88, v88                                 // 00000000222C: 7EB00B58
	v_cvt_f32_i32_e32 v89, v89                                 // 000000002230: 7EB20B59
	v_cvt_f32_i32_e32 v90, v90                                 // 000000002234: 7EB40B5A
	v_cvt_f32_i32_e32 v91, v91                                 // 000000002238: 7EB60B5B
	v_cvt_f32_i32_e32 v92, v92                                 // 00000000223C: 7EB80B5C
	v_cvt_f32_i32_e32 v93, v93                                 // 000000002240: 7EBA0B5D
	v_cvt_f32_i32_e32 v94, v94                                 // 000000002244: 7EBC0B5E
	v_cvt_f32_i32_e32 v95, v95                                 // 000000002248: 7EBE0B5F
	v_mul_f32_e32 v88, v46, v88                                // 00000000224C: 0AB0B12E
	v_mul_f32_e32 v89, v46, v89                                // 000000002250: 0AB2B32E
	v_mul_f32_e32 v90, v46, v90                                // 000000002254: 0AB4B52E
	v_mul_f32_e32 v91, v46, v91                                // 000000002258: 0AB6B72E
	v_mul_f32_e32 v92, v46, v92                                // 00000000225C: 0AB8B92E
	v_mul_f32_e32 v93, v46, v93                                // 000000002260: 0ABABB2E
	v_mul_f32_e32 v94, v46, v94                                // 000000002264: 0ABCBD2E
	v_mul_f32_e32 v95, v46, v95                                // 000000002268: 0ABEBF2E
	buffer_load_dwordx4 a[48:51], v28, s[16:19], 0 offen       // 00000000226C: E05C1000 8084301C
	v_mul_f32_dpp v88, v124, v88 quad_perm:[0,0,0,0] row_mask:0xf bank_mask:0xf// 000000002274: 0AB0B0FA FF00007C
	v_mul_f32_dpp v89, v124, v89 quad_perm:[1,1,1,1] row_mask:0xf bank_mask:0xf// 00000000227C: 0AB2B2FA FF00557C
	v_mul_f32_dpp v90, v124, v90 quad_perm:[2,2,2,2] row_mask:0xf bank_mask:0xf// 000000002284: 0AB4B4FA FF00AA7C
	v_mul_f32_dpp v91, v124, v91 quad_perm:[3,3,3,3] row_mask:0xf bank_mask:0xf// 00000000228C: 0AB6B6FA FF00FF7C
	v_mul_f32_dpp v92, v125, v92 quad_perm:[0,0,0,0] row_mask:0xf bank_mask:0xf// 000000002294: 0AB8B8FA FF00007D
	v_mul_f32_dpp v93, v125, v93 quad_perm:[1,1,1,1] row_mask:0xf bank_mask:0xf// 00000000229C: 0ABABAFA FF00557D
	v_mul_f32_dpp v94, v125, v94 quad_perm:[2,2,2,2] row_mask:0xf bank_mask:0xf// 0000000022A4: 0ABCBCFA FF00AA7D
	v_mul_f32_dpp v95, v125, v95 quad_perm:[3,3,3,3] row_mask:0xf bank_mask:0xf// 0000000022AC: 0ABEBEFA FF00FF7D
	buffer_load_dwordx4 a[52:55], v28, s[16:19], 0 offen offset:1024// 0000000022B4: E05C1400 8084341C
	v_mov_b32_e32 v48, v88                                     // 0000000022BC: 7E600358
	v_max3_f32 v48, v88, v89, v48                              // 0000000022C0: D1D30030 04C2B358
	v_max3_f32 v48, v90, v91, v48                              // 0000000022C8: D1D30030 04C2B75A
	v_max3_f32 v48, v92, v93, v48                              // 0000000022D0: D1D30030 04C2BB5C
	v_max3_f32 v48, v94, v95, v48                              // 0000000022D8: D1D30030 04C2BF5E
	ds_write_b32 v11, v48 offset:4224                          // 0000000022E0: D81A1080 0000300B
	buffer_load_dwordx4 a[56:59], v29, s[16:19], 0 offen       // 0000000022E8: E05C1000 8084381D
	v_mul_u32_u24_dpp v38, v17, v51 row_newbcast:1 row_mask:0xf bank_mask:0xf// 0000000022F0: 104C66FA FF015111
	v_mul_u32_u24_dpp v39, v17, v51 row_newbcast:5 row_mask:0xf bank_mask:0xf// 0000000022F8: 104E66FA FF015511
	v_mul_u32_u24_dpp v40, v17, v51 row_newbcast:9 row_mask:0xf bank_mask:0xf// 000000002300: 105066FA FF015911
	v_mul_u32_u24_dpp v41, v17, v51 row_newbcast:13 row_mask:0xf bank_mask:0xf// 000000002308: 105266FA FF015D11
	v_add_u32_e32 v34, v38, v7                                 // 000000002310: 68440F26
	v_add_u32_e32 v35, v39, v7                                 // 000000002314: 68460F27
	v_add_u32_e32 v36, v40, v7                                 // 000000002318: 68480F28
	v_add_u32_e32 v37, v41, v7                                 // 00000000231C: 684A0F29
	s_waitcnt lgkmcnt(0)                                       // 000000002320: BF8CC07F
	s_barrier                                                  // 000000002324: BF8A0000
	ds_read_b32 v64, v10 offset:4224                           // 000000002328: D86C1080 4000000A
	ds_read_b32 v65, v10 offset:4288                           // 000000002330: D86C10C0 4100000A
	ds_read_b32 v66, v10 offset:4352                           // 000000002338: D86C1100 4200000A
	ds_read_b32 v67, v10 offset:4416                           // 000000002340: D86C1140 4300000A
	ds_read_b32 v68, v10 offset:4480                           // 000000002348: D86C1180 4400000A
	ds_read_b32 v69, v10 offset:4544                           // 000000002350: D86C11C0 4500000A
	ds_read_b32 v70, v10 offset:4608                           // 000000002358: D86C1200 4600000A
	ds_read_b32 v71, v10 offset:4672                           // 000000002360: D86C1240 4700000A
	ds_read_b32 v72, v10 offset:4736                           // 000000002368: D86C1280 4800000A
	ds_read_b32 v73, v10 offset:4800                           // 000000002370: D86C12C0 4900000A
	ds_read_b32 v74, v10 offset:4864                           // 000000002378: D86C1300 4A00000A
	ds_read_b32 v75, v10 offset:4928                           // 000000002380: D86C1340 4B00000A
	ds_read_b32 v76, v10 offset:4992                           // 000000002388: D86C1380 4C00000A
	ds_read_b32 v77, v10 offset:5056                           // 000000002390: D86C13C0 4D00000A
	ds_read_b32 v78, v10 offset:5120                           // 000000002398: D86C1400 4E00000A
	ds_read_b32 v79, v10 offset:5184                           // 0000000023A0: D86C1440 4F00000A
	buffer_load_dwordx4 a[60:63], v29, s[16:19], 0 offen offset:1024// 0000000023A8: E05C1400 80843C1D
	v_mul_f32_e32 v112, v49, v112                              // 0000000023B0: 0AE0E131
	v_mul_f32_e32 v113, v49, v113                              // 0000000023B4: 0AE2E331
	v_mul_f32_e32 v114, v49, v114                              // 0000000023B8: 0AE4E531
	v_mul_f32_e32 v115, v49, v115                              // 0000000023BC: 0AE6E731
	v_or_b32_dpp v104, v108, v104 row_shr:8 row_mask:0xf bank_mask:0xf bound_ctrl:1// 0000000023C0: 28D0D0FA FF09186C
	v_or_b32_dpp v105, v109, v105 row_shr:8 row_mask:0xf bank_mask:0xf bound_ctrl:1// 0000000023C8: 28D2D2FA FF09186D
	v_or_b32_dpp v106, v110, v106 row_shr:8 row_mask:0xf bank_mask:0xf bound_ctrl:1// 0000000023D0: 28D4D4FA FF09186E
	v_or_b32_dpp v107, v111, v107 row_shr:8 row_mask:0xf bank_mask:0xf bound_ctrl:1// 0000000023D8: 28D6D6FA FF09186F
	s_waitcnt lgkmcnt(0)                                       // 0000000023E0: BF8CC07F
	v_max3_f32 v48, v64, v65, v48                              // 0000000023E4: D1D30030 04C28340
	v_max3_f32 v48, v66, v67, v48                              // 0000000023EC: D1D30030 04C28742
	v_max3_f32 v48, v68, v69, v48                              // 0000000023F4: D1D30030 04C28B44
	v_max3_f32 v48, v70, v71, v48                              // 0000000023FC: D1D30030 04C28F46
	v_max3_f32 v48, v72, v73, v48                              // 000000002404: D1D30030 04C29348
	v_max3_f32 v48, v74, v75, v48                              // 00000000240C: D1D30030 04C2974A
	v_max3_f32 v48, v76, v77, v48                              // 000000002414: D1D30030 04C29B4C
	v_max3_f32 v48, v78, v79, v48                              // 00000000241C: D1D30030 04C29F4E
	buffer_load_dwordx4 a[96:99], v34, s[20:23], 0 offen       // 000000002424: E05C1000 80856022
	v_cmp_eq_u32_e64 s[40:41], v52, v14                        // 00000000242C: D0CA0028 00021D34
	s_nop 1                                                    // 000000002434: BF800001
	v_mov_b32_dpp v38, v48 row_ror:8 row_mask:0xf bank_mask:0xf// 000000002438: 7E4C02FA FF012830
	v_max_f32_e32 v48, v48, v38                                // 000000002440: 16604D30
	v_max_f32_e32 v15, v48, v14                                // 000000002444: 161E1D30
	v_mul_f32_e32 v50, s64, v15                                // 000000002448: 0A641E40
	v_fma_f32 v88, v88, s64, -v50                              // 00000000244C: D1CB0058 84C88158
	v_fma_f32 v89, v89, s64, -v50                              // 000000002454: D1CB0059 84C88159
	v_fma_f32 v90, v90, s64, -v50                              // 00000000245C: D1CB005A 84C8815A
	v_fma_f32 v91, v91, s64, -v50                              // 000000002464: D1CB005B 84C8815B
	v_fma_f32 v92, v92, s64, -v50                              // 00000000246C: D1CB005C 84C8815C
	v_fma_f32 v93, v93, s64, -v50                              // 000000002474: D1CB005D 84C8815D
	v_fma_f32 v94, v94, s64, -v50                              // 00000000247C: D1CB005E 84C8815E
	v_fma_f32 v95, v95, s64, -v50                              // 000000002484: D1CB005F 84C8815F
	buffer_load_dwordx4 a[100:103], v35, s[20:23], 0 offen     // 00000000248C: E05C1000 80856423
	v_exp_f32_e32 v88, v88                                     // 000000002494: 7EB04158
	v_exp_f32_e32 v89, v89                                     // 000000002498: 7EB24159
	v_exp_f32_e32 v90, v90                                     // 00000000249C: 7EB4415A
	v_exp_f32_e32 v91, v91                                     // 0000000024A0: 7EB6415B
	v_exp_f32_e32 v92, v92                                     // 0000000024A4: 7EB8415C
	v_exp_f32_e32 v93, v93                                     // 0000000024A8: 7EBA415D
	v_exp_f32_e32 v94, v94                                     // 0000000024AC: 7EBC415E
	v_exp_f32_e32 v95, v95                                     // 0000000024B0: 7EBE415F
	buffer_load_dwordx4 a[104:107], v36, s[20:23], 0 offen     // 0000000024B4: E05C1000 80856824
	v_mul_f32_dpp v128, v126, v88 quad_perm:[0,0,0,0] row_mask:0xf bank_mask:0xf// 0000000024BC: 0B00B0FA FF00007E
	v_mul_f32_dpp v129, v126, v89 quad_perm:[1,1,1,1] row_mask:0xf bank_mask:0xf// 0000000024C4: 0B02B2FA FF00557E
	v_mul_f32_dpp v130, v126, v90 quad_perm:[2,2,2,2] row_mask:0xf bank_mask:0xf// 0000000024CC: 0B04B4FA FF00AA7E
	v_mul_f32_dpp v131, v126, v91 quad_perm:[3,3,3,3] row_mask:0xf bank_mask:0xf// 0000000024D4: 0B06B6FA FF00FF7E
	v_mul_f32_dpp v132, v127, v92 quad_perm:[0,0,0,0] row_mask:0xf bank_mask:0xf// 0000000024DC: 0B08B8FA FF00007F
	v_mul_f32_dpp v133, v127, v93 quad_perm:[1,1,1,1] row_mask:0xf bank_mask:0xf// 0000000024E4: 0B0ABAFA FF00557F
	v_mul_f32_dpp v134, v127, v94 quad_perm:[2,2,2,2] row_mask:0xf bank_mask:0xf// 0000000024EC: 0B0CBCFA FF00AA7F
	v_mul_f32_dpp v135, v127, v95 quad_perm:[3,3,3,3] row_mask:0xf bank_mask:0xf// 0000000024F4: 0B0EBEFA FF00FF7F
	v_mov_b32_e32 v48, 0x358637bd                              // 0000000024FC: 7E6002FF 358637BD
	v_max3_f32 v48, |v128|, |v129|, v48                        // 000000002504: D1D30330 04C30380
	v_max3_f32 v48, |v130|, |v131|, v48                        // 00000000250C: D1D30330 04C30782
	v_max3_f32 v48, |v132|, |v133|, v48                        // 000000002514: D1D30330 04C30B84
	v_max3_f32 v48, |v134|, |v135|, v48                        // 00000000251C: D1D30330 04C30F86
	buffer_load_dwordx4 a[108:111], v37, s[20:23], 0 offen     // 000000002524: E05C1000 80856C25
	ds_write_b32 v11, v48 offset:5248                          // 00000000252C: D81A1480 0000300B
	v_sub_f32_e32 v49, v14, v15                                // 000000002534: 04621F0E
	v_cndmask_b32_e64 v49, v49, 0, s[40:41]                    // 000000002538: D1000031 00A10131
	v_mov_b32_e32 v14, v15                                     // 000000002540: 7E1C030F
	v_mul_f32_e32 v49, s64, v49                                // 000000002544: 0A626240
	v_exp_f32_e32 v49, v49                                     // 000000002548: 7E624131
	s_waitcnt lgkmcnt(0)                                       // 00000000254C: BF8CC07F
	s_barrier                                                  // 000000002550: BF8A0000
	ds_read_b32 v64, v10 offset:5248                           // 000000002554: D86C1480 4000000A
	ds_read_b32 v65, v10 offset:5312                           // 00000000255C: D86C14C0 4100000A
	ds_read_b32 v66, v10 offset:5376                           // 000000002564: D86C1500 4200000A
	ds_read_b32 v67, v10 offset:5440                           // 00000000256C: D86C1540 4300000A
	ds_read_b32 v68, v10 offset:5504                           // 000000002574: D86C1580 4400000A
	ds_read_b32 v69, v10 offset:5568                           // 00000000257C: D86C15C0 4500000A
	ds_read_b32 v70, v10 offset:5632                           // 000000002584: D86C1600 4600000A
	ds_read_b32 v71, v10 offset:5696                           // 00000000258C: D86C1640 4700000A
	ds_read_b32 v72, v10 offset:5760                           // 000000002594: D86C1680 4800000A
	ds_read_b32 v73, v10 offset:5824                           // 00000000259C: D86C16C0 4900000A
	ds_read_b32 v74, v10 offset:5888                           // 0000000025A4: D86C1700 4A00000A
	ds_read_b32 v75, v10 offset:5952                           // 0000000025AC: D86C1740 4B00000A
	ds_read_b32 v76, v10 offset:6016                           // 0000000025B4: D86C1780 4C00000A
	ds_read_b32 v77, v10 offset:6080                           // 0000000025BC: D86C17C0 4D00000A
	ds_read_b32 v78, v10 offset:6144                           // 0000000025C4: D86C1800 4E00000A
	ds_read_b32 v79, v10 offset:6208                           // 0000000025CC: D86C1840 4F00000A
	v_mul_f32_e32 v42, v49, v42                                // 0000000025D4: 0A545531
	v_mov_b32_e32 v43, v88                                     // 0000000025D8: 7E560358
	v_add_f32_e32 v43, v89, v43                                // 0000000025DC: 02565759
	v_add_f32_e32 v43, v90, v43                                // 0000000025E0: 0256575A
	v_add_f32_e32 v43, v91, v43                                // 0000000025E4: 0256575B
	v_add_f32_e32 v43, v92, v43                                // 0000000025E8: 0256575C
	v_add_f32_e32 v43, v93, v43                                // 0000000025EC: 0256575D
	v_add_f32_e32 v43, v94, v43                                // 0000000025F0: 0256575E
	v_add_f32_e32 v43, v95, v43                                // 0000000025F4: 0256575F
	v_add_f32_e32 v42, v43, v42                                // 0000000025F8: 0254552B
	s_waitcnt lgkmcnt(0)                                       // 0000000025FC: BF8CC07F
	v_max3_f32 v48, |v64|, |v65|, v48                          // 000000002600: D1D30330 04C28340
	v_max3_f32 v48, |v66|, |v67|, v48                          // 000000002608: D1D30330 04C28742
	v_max3_f32 v48, |v68|, |v69|, v48                          // 000000002610: D1D30330 04C28B44
	v_max3_f32 v48, |v70|, |v71|, v48                          // 000000002618: D1D30330 04C28F46
	v_max3_f32 v48, |v72|, |v73|, v48                          // 000000002620: D1D30330 04C29348
	v_max3_f32 v48, |v74|, |v75|, v48                          // 000000002628: D1D30330 04C2974A
	v_max3_f32 v48, |v76|, |v77|, v48                          // 000000002630: D1D30330 04C29B4C
	v_max3_f32 v48, |v78|, |v79|, v48                          // 000000002638: D1D30330 04C29F4E
	s_nop 2                                                    // 000000002640: BF800002
	v_mov_b32_dpp v38, v48 row_ror:8 row_mask:0xf bank_mask:0xf// 000000002644: 7E4C02FA FF012830
	v_max_f32_e32 v48, v48, v38                                // 00000000264C: 16604D30
	v_rcp_f32_e32 v48, v48                                     // 000000002650: 7E604530
	s_nop 1                                                    // 000000002654: BF800001
	v_mul_f32_e32 v48, 0x42fe0000, v48                         // 000000002658: 0A6060FF 42FE0000
	v_mul_f32_e32 v88, v48, v128                               // 000000002660: 0AB10130
	v_mul_f32_e32 v89, v48, v129                               // 000000002664: 0AB30330
	v_mul_f32_e32 v90, v48, v130                               // 000000002668: 0AB50530
	v_mul_f32_e32 v91, v48, v131                               // 00000000266C: 0AB70730
	v_mul_f32_e32 v92, v48, v132                               // 000000002670: 0AB90930
	v_mul_f32_e32 v93, v48, v133                               // 000000002674: 0ABB0B30
	v_mul_f32_e32 v94, v48, v134                               // 000000002678: 0ABD0D30
	v_mul_f32_e32 v95, v48, v135                               // 00000000267C: 0ABF0F30
	v_cvt_i32_f32_e32 v88, v88                                 // 000000002680: 7EB01158
	v_cvt_i32_f32_e32 v89, v89                                 // 000000002684: 7EB21159
	v_cvt_i32_f32_e32 v90, v90                                 // 000000002688: 7EB4115A
	v_cvt_i32_f32_e32 v91, v91                                 // 00000000268C: 7EB6115B
	v_cvt_i32_f32_e32 v92, v92                                 // 000000002690: 7EB8115C
	v_cvt_i32_f32_e32 v93, v93                                 // 000000002694: 7EBA115D
	v_cvt_i32_f32_e32 v94, v94                                 // 000000002698: 7EBC115E
	v_cvt_i32_f32_e32 v95, v95                                 // 00000000269C: 7EBE115F
	v_perm_b32 v88, v89, v88, s53                              // 0000000026A0: D1ED0058 00D6B159
	v_perm_b32 v88, v90, v88, s54                              // 0000000026A8: D1ED0058 00DAB15A
	v_perm_b32 v88, v91, v88, s55                              // 0000000026B0: D1ED0058 00DEB15B
	v_perm_b32 v89, v93, v92, s53                              // 0000000026B8: D1ED0059 00D6B95D
	v_perm_b32 v89, v94, v89, s54                              // 0000000026C0: D1ED0059 00DAB35E
	v_perm_b32 v89, v95, v89, s55                              // 0000000026C8: D1ED0059 00DEB35F
	ds_write_b32 v13, v88 offset:6272                          // 0000000026D0: D81A1880 0000580D
	ds_write_b32 v13, v89 offset:7296                          // 0000000026D8: D81A1C80 0000590D
	v_cvt_f32_i32_e32 v104, v104                               // 0000000026E0: 7ED00B68
	v_cvt_f32_i32_e32 v105, v105                               // 0000000026E4: 7ED20B69
	v_cvt_f32_i32_e32 v106, v106                               // 0000000026E8: 7ED40B6A
	v_cvt_f32_i32_e32 v107, v107                               // 0000000026EC: 7ED60B6B
	v_mul_f32_e32 v104, v47, v104                              // 0000000026F0: 0AD0D12F
	v_mul_f32_e32 v105, v47, v105                              // 0000000026F4: 0AD2D32F
	v_mul_f32_e32 v106, v47, v106                              // 0000000026F8: 0AD4D52F
	v_mul_f32_e32 v107, v47, v107                              // 0000000026FC: 0AD6D72F
	v_rcp_f32_e32 v47, v48                                     // 000000002700: 7E5E4530
	s_waitcnt lgkmcnt(0)                                       // 000000002704: BF8CC07F
	s_barrier                                                  // 000000002708: BF8A0000
	ds_read_b64 v[88:89], v12 offset:6272                      // 00000000270C: D8EC1880 5800000C
	ds_read_b64 v[90:91], v12 offset:6400                      // 000000002714: D8EC1900 5A00000C
	ds_read_b64 v[92:93], v12 offset:7296                      // 00000000271C: D8EC1C80 5C00000C
	ds_read_b64 v[94:95], v12 offset:7424                      // 000000002724: D8EC1D00 5E00000C
	v_add_f32_e32 v112, v112, v104                             // 00000000272C: 02E0D170
	v_add_f32_e32 v113, v113, v105                             // 000000002730: 02E2D371
	v_add_f32_e32 v114, v114, v106                             // 000000002734: 02E4D572
	v_add_f32_e32 v115, v115, v107                             // 000000002738: 02E6D773
	s_waitcnt lgkmcnt(3)                                       // 00000000273C: BF8CC37F
	v_mov_b32_dpp v96, v88 row_shl:8 row_mask:0xf bank_mask:0xf bound_ctrl:1// 000000002740: 7EC002FA FF090858
	v_and_b32_e32 v88, v88, v9                                 // 000000002748: 26B01358
	v_mov_b32_dpp v97, v89 row_shl:8 row_mask:0xf bank_mask:0xf bound_ctrl:1// 00000000274C: 7EC202FA FF090859
	v_and_b32_e32 v89, v89, v9                                 // 000000002754: 26B21359
	s_waitcnt lgkmcnt(2)                                       // 000000002758: BF8CC27F
	v_mov_b32_dpp v98, v90 row_shl:8 row_mask:0xf bank_mask:0xf bound_ctrl:1// 00000000275C: 7EC402FA FF09085A
	v_and_b32_e32 v90, v90, v9                                 // 000000002764: 26B4135A
	v_mov_b32_dpp v99, v91 row_shl:8 row_mask:0xf bank_mask:0xf bound_ctrl:1// 000000002768: 7EC602FA FF09085B
	v_and_b32_e32 v91, v91, v9                                 // 000000002770: 26B6135B
	s_waitcnt lgkmcnt(1)                                       // 000000002774: BF8CC17F
	v_mov_b32_dpp v100, v92 row_shl:8 row_mask:0xf bank_mask:0xf bound_ctrl:1// 000000002778: 7EC802FA FF09085C
	v_and_b32_e32 v92, v92, v9                                 // 000000002780: 26B8135C
	v_mov_b32_dpp v101, v93 row_shl:8 row_mask:0xf bank_mask:0xf bound_ctrl:1// 000000002784: 7ECA02FA FF09085D
	v_and_b32_e32 v93, v93, v9                                 // 00000000278C: 26BA135D
	s_waitcnt lgkmcnt(0)                                       // 000000002790: BF8CC07F
	v_mov_b32_dpp v102, v94 row_shl:8 row_mask:0xf bank_mask:0xf bound_ctrl:1// 000000002794: 7ECC02FA FF09085E
	v_and_b32_e32 v94, v94, v9                                 // 00000000279C: 26BC135E
	v_mov_b32_dpp v103, v95 row_shl:8 row_mask:0xf bank_mask:0xf bound_ctrl:1// 0000000027A0: 7ECE02FA FF09085F
	v_and_b32_e32 v95, v95, v9                                 // 0000000027A8: 26BE135F
	s_waitcnt vmcnt(15)                                        // 0000000027AC: BF8C0F7F
	v_mfma_i32_16x16x32_i8 v[104:107], a[64:65], v[88:89], 0   // 0000000027B0: D3D70068 0A02B140
	v_mfma_i32_16x16x32_i8 v[104:107], a[66:67], v[90:91], v[104:107]// 0000000027B8: D3D70068 0DA2B542
	buffer_load_dwordx4 a[112:115], v34, s[20:23], 0 offen offset:1024// 0000000027C0: E05C1400 80857022
	v_mfma_i32_16x16x32_i8 v[104:107], a[68:69], v[92:93], v[104:107]// 0000000027C8: D3D70068 0DA2B944
	v_mfma_i32_16x16x32_i8 v[104:107], a[70:71], v[94:95], v[104:107]// 0000000027D0: D3D70068 0DA2BD46
	v_mfma_i32_16x16x32_i8 v[104:107], a[72:73], v[96:97], v[104:107]// 0000000027D8: D3D70068 0DA2C148
	v_mfma_i32_16x16x32_i8 v[104:107], a[74:75], v[98:99], v[104:107]// 0000000027E0: D3D70068 0DA2C54A
	buffer_load_dwordx4 a[116:119], v35, s[20:23], 0 offen offset:1024// 0000000027E8: E05C1400 80857423
	v_mfma_i32_16x16x32_i8 v[104:107], a[76:77], v[100:101], v[104:107]// 0000000027F0: D3D70068 0DA2C94C
	v_mfma_i32_16x16x32_i8 v[104:107], a[78:79], v[102:103], v[104:107]// 0000000027F8: D3D70068 0DA2CD4E
	v_mfma_i32_16x16x32_i8 v[108:111], a[80:81], v[88:89], 0   // 000000002800: D3D7006C 0A02B150
	v_mfma_i32_16x16x32_i8 v[108:111], a[82:83], v[90:91], v[108:111]// 000000002808: D3D7006C 0DB2B552
	buffer_load_dwordx4 a[120:123], v36, s[20:23], 0 offen offset:1024// 000000002810: E05C1400 80857824
	v_mfma_i32_16x16x32_i8 v[108:111], a[84:85], v[92:93], v[108:111]// 000000002818: D3D7006C 0DB2B954
	v_mfma_i32_16x16x32_i8 v[108:111], a[86:87], v[94:95], v[108:111]// 000000002820: D3D7006C 0DB2BD56
	v_mfma_i32_16x16x32_i8 v[108:111], a[88:89], v[96:97], v[108:111]// 000000002828: D3D7006C 0DB2C158
	v_mfma_i32_16x16x32_i8 v[108:111], a[90:91], v[98:99], v[108:111]// 000000002830: D3D7006C 0DB2C55A
	buffer_load_dwordx4 a[124:127], v37, s[20:23], 0 offen offset:1024// 000000002838: E05C1400 80857C25
	v_mfma_i32_16x16x32_i8 v[108:111], a[92:93], v[100:101], v[108:111]// 000000002840: D3D7006C 0DB2C95C
	s_lshr_b32 s57, s70, 4                                     // 000000002848: 8F398446
	s_add_u32 s57, 48, s57                                     // 00000000284C: 803939B0
	v_mfma_i32_16x16x32_i8 v[108:111], a[94:95], v[102:103], v[108:111]// 000000002850: D3D7006C 0DB2CD5E
	s_cmp_ge_u32 s57, s73                                      // 000000002858: BF094939
	s_cselect_b32 s56, 0, s56                                  // 00000000285C: 85383880
	v_add_u32_e32 v1, s56, v1                                  // 000000002860: 68020238
	s_addk_i32 s70, 0x100                                      // 000000002864: B7460100
	s_cmp_lt_i32 s70, s71                                      // 000000002868: BF044746
	s_cbranch_scc0 label_05CF                                  // 00000000286C: BF8401F3
	s_waitcnt vmcnt(8) lgkmcnt(0)                              // 000000002870: BF8C0078
	v_mul_u32_u24_dpp v38, v16, v51 row_newbcast:0 row_mask:0xf bank_mask:0xf// 000000002874: 104C66FA FF015010
	v_mul_u32_u24_dpp v39, v16, v51 row_newbcast:4 row_mask:0xf bank_mask:0xf// 00000000287C: 104E66FA FF015410
	v_mul_u32_u24_dpp v40, v16, v51 row_newbcast:8 row_mask:0xf bank_mask:0xf// 000000002884: 105066FA FF015810
	v_mul_u32_u24_dpp v41, v16, v51 row_newbcast:12 row_mask:0xf bank_mask:0xf// 00000000288C: 105266FA FF015C10
	v_add_u32_e32 v22, v38, v6                                 // 000000002894: 682C0D26
	v_add_u32_e32 v23, v39, v6                                 // 000000002898: 682E0D27
	v_add_u32_e32 v24, v40, v6                                 // 00000000289C: 68300D28
	v_add_u32_e32 v25, v41, v6                                 // 0000000028A0: 68320D29
	v_mul_u32_u24_dpp v38, v16, v61 quad_perm:[0,0,0,0] row_mask:0xf bank_mask:0xf// 0000000028A4: 104C7AFA FF000010
	v_add_u32_e32 v2, v38, v57                                 // 0000000028AC: 68047326
	v_mul_u32_u24_dpp v38, v16, v61 quad_perm:[0,0,0,0] row_mask:0xf bank_mask:0xf// 0000000028B0: 104C7AFA FF000010
	v_add_u32_e32 v53, v38, v58                                // 0000000028B8: 686A7526
	v_mfma_i32_16x16x32_i8 v[88:91], a[32:33], v[80:81], 0     // 0000000028BC: D3D70058 0A02A120
	v_mfma_i32_16x16x32_i8 v[88:91], a[34:35], v[82:83], v[88:91]// 0000000028C4: D3D70058 0D62A522
	buffer_load_dwordx4 a[0:3], v22, s[16:19], 0 offen         // 0000000028CC: E05C1000 80840016
	v_mfma_i32_16x16x32_i8 v[88:91], a[36:37], v[84:85], v[88:91]// 0000000028D4: D3D70058 0D62A924
	v_mfma_i32_16x16x32_i8 v[88:91], a[38:39], v[86:87], v[88:91]// 0000000028DC: D3D70058 0D62AD26
	buffer_load_dword v17, v1, s[24:27], 0 offen               // 0000000028E4: E0501000 80061101
	v_mfma_i32_16x16x32_i8 v[92:95], a[40:41], v[80:81], 0     // 0000000028EC: D3D7005C 0A02A128
	v_mfma_i32_16x16x32_i8 v[92:95], a[42:43], v[82:83], v[92:95]// 0000000028F4: D3D7005C 0D72A52A
	buffer_load_dwordx4 a[4:7], v22, s[16:19], 0 offen offset:1024// 0000000028FC: E05C1400 80840416
	v_mfma_i32_16x16x32_i8 v[92:95], a[44:45], v[84:85], v[92:95]// 000000002904: D3D7005C 0D72A92C
	v_mfma_i32_16x16x32_i8 v[92:95], a[46:47], v[86:87], v[92:95]// 00000000290C: D3D7005C 0D72AD2E
	v_mfma_i32_16x16x32_i8 v[96:99], a[48:49], v[80:81], 0     // 000000002914: D3D70060 0A02A130
	v_mfma_i32_16x16x32_i8 v[96:99], a[50:51], v[82:83], v[96:99]// 00000000291C: D3D70060 0D82A532
	buffer_load_dwordx4 a[8:11], v23, s[16:19], 0 offen        // 000000002924: E05C1000 80840817
	v_mfma_i32_16x16x32_i8 v[96:99], a[52:53], v[84:85], v[96:99]// 00000000292C: D3D70060 0D82A934
	v_mfma_i32_16x16x32_i8 v[96:99], a[54:55], v[86:87], v[96:99]// 000000002934: D3D70060 0D82AD36
	v_mfma_i32_16x16x32_i8 v[100:103], a[56:57], v[80:81], 0   // 00000000293C: D3D70064 0A02A138
	v_mfma_i32_16x16x32_i8 v[100:103], a[58:59], v[82:83], v[100:103]// 000000002944: D3D70064 0D92A53A
	buffer_load_dwordx4 a[12:15], v23, s[16:19], 0 offen offset:1024// 00000000294C: E05C1400 80840C17
	v_mfma_i32_16x16x32_i8 v[100:103], a[60:61], v[84:85], v[100:103]// 000000002954: D3D70064 0D92A93C
	v_mfma_i32_16x16x32_i8 v[100:103], a[62:63], v[86:87], v[100:103]// 00000000295C: D3D70064 0D92AD3E
	buffer_load_dword v44, v2, s[32:35], 0 offen               // 000000002964: E0501000 80082C02
	v_mov_b32_dpp v38, v45 row_shr:4 row_mask:0xf bank_mask:0xf// 00000000296C: 7E4C02FA FF01142D
	v_mov_b32_dpp v39, v45 row_shl:4 row_mask:0xf bank_mask:0xf// 000000002974: 7E4E02FA FF01042D
	v_cndmask_b32_e64 v124, v45, v38, s[44:45]                 // 00000000297C: D100007C 00B24D2D
	v_cndmask_b32_e64 v125, v39, v45, s[44:45]                 // 000000002984: D100007D 00B25B27
	v_mov_b32_dpp v38, v56 row_shr:4 row_mask:0xf bank_mask:0xf// 00000000298C: 7E4C02FA FF011438
	v_mov_b32_dpp v39, v56 row_shl:4 row_mask:0xf bank_mask:0xf// 000000002994: 7E4E02FA FF010438
	v_cndmask_b32_e64 v126, v56, v38, s[44:45]                 // 00000000299C: D100007E 00B24D38
	v_cndmask_b32_e64 v127, v39, v56, s[44:45]                 // 0000000029A4: D100007F 00B27127
	v_or_b32_dpp v88, v96, v88 row_shr:8 row_mask:0xf bank_mask:0xf bound_ctrl:1// 0000000029AC: 28B0B0FA FF091860
	v_or_b32_dpp v89, v97, v89 row_shr:8 row_mask:0xf bank_mask:0xf bound_ctrl:1// 0000000029B4: 28B2B2FA FF091861
	v_or_b32_dpp v90, v98, v90 row_shr:8 row_mask:0xf bank_mask:0xf bound_ctrl:1// 0000000029BC: 28B4B4FA FF091862
	v_or_b32_dpp v91, v99, v91 row_shr:8 row_mask:0xf bank_mask:0xf bound_ctrl:1// 0000000029C4: 28B6B6FA FF091863
	v_or_b32_dpp v92, v100, v92 row_shr:8 row_mask:0xf bank_mask:0xf bound_ctrl:1// 0000000029CC: 28B8B8FA FF091864
	v_or_b32_dpp v93, v101, v93 row_shr:8 row_mask:0xf bank_mask:0xf bound_ctrl:1// 0000000029D4: 28BABAFA FF091865
	v_or_b32_dpp v94, v102, v94 row_shr:8 row_mask:0xf bank_mask:0xf bound_ctrl:1// 0000000029DC: 28BCBCFA FF091866
	v_or_b32_dpp v95, v103, v95 row_shr:8 row_mask:0xf bank_mask:0xf bound_ctrl:1// 0000000029E4: 28BEBEFA FF091867
	buffer_load_dword v55, v53, s[36:39], 0 offen              // 0000000029EC: E0501000 80093735
	v_cvt_f32_i32_e32 v88, v88                                 // 0000000029F4: 7EB00B58
	v_cvt_f32_i32_e32 v89, v89                                 // 0000000029F8: 7EB20B59
	v_cvt_f32_i32_e32 v90, v90                                 // 0000000029FC: 7EB40B5A
	v_cvt_f32_i32_e32 v91, v91                                 // 000000002A00: 7EB60B5B
	v_cvt_f32_i32_e32 v92, v92                                 // 000000002A04: 7EB80B5C
	v_cvt_f32_i32_e32 v93, v93                                 // 000000002A08: 7EBA0B5D
	v_cvt_f32_i32_e32 v94, v94                                 // 000000002A0C: 7EBC0B5E
	v_cvt_f32_i32_e32 v95, v95                                 // 000000002A10: 7EBE0B5F
	v_mul_f32_e32 v88, v46, v88                                // 000000002A14: 0AB0B12E
	v_mul_f32_e32 v89, v46, v89                                // 000000002A18: 0AB2B32E
	v_mul_f32_e32 v90, v46, v90                                // 000000002A1C: 0AB4B52E
	v_mul_f32_e32 v91, v46, v91                                // 000000002A20: 0AB6B72E
	v_mul_f32_e32 v92, v46, v92                                // 000000002A24: 0AB8B92E
	v_mul_f32_e32 v93, v46, v93                                // 000000002A28: 0ABABB2E
	v_mul_f32_e32 v94, v46, v94                                // 000000002A2C: 0ABCBD2E
	v_mul_f32_e32 v95, v46, v95                                // 000000002A30: 0ABEBF2E
	buffer_load_dwordx4 a[16:19], v24, s[16:19], 0 offen       // 000000002A34: E05C1000 80841018
	v_mul_f32_dpp v88, v124, v88 quad_perm:[0,0,0,0] row_mask:0xf bank_mask:0xf// 000000002A3C: 0AB0B0FA FF00007C
	v_mul_f32_dpp v89, v124, v89 quad_perm:[1,1,1,1] row_mask:0xf bank_mask:0xf// 000000002A44: 0AB2B2FA FF00557C
	v_mul_f32_dpp v90, v124, v90 quad_perm:[2,2,2,2] row_mask:0xf bank_mask:0xf// 000000002A4C: 0AB4B4FA FF00AA7C
	v_mul_f32_dpp v91, v124, v91 quad_perm:[3,3,3,3] row_mask:0xf bank_mask:0xf// 000000002A54: 0AB6B6FA FF00FF7C
	v_mul_f32_dpp v92, v125, v92 quad_perm:[0,0,0,0] row_mask:0xf bank_mask:0xf// 000000002A5C: 0AB8B8FA FF00007D
	v_mul_f32_dpp v93, v125, v93 quad_perm:[1,1,1,1] row_mask:0xf bank_mask:0xf// 000000002A64: 0ABABAFA FF00557D
	v_mul_f32_dpp v94, v125, v94 quad_perm:[2,2,2,2] row_mask:0xf bank_mask:0xf// 000000002A6C: 0ABCBCFA FF00AA7D
	v_mul_f32_dpp v95, v125, v95 quad_perm:[3,3,3,3] row_mask:0xf bank_mask:0xf// 000000002A74: 0ABEBEFA FF00FF7D
	buffer_load_dwordx4 a[20:23], v24, s[16:19], 0 offen offset:1024// 000000002A7C: E05C1400 80841418
	v_mov_b32_e32 v48, v88                                     // 000000002A84: 7E600358
	v_max3_f32 v48, v88, v89, v48                              // 000000002A88: D1D30030 04C2B358
	v_max3_f32 v48, v90, v91, v48                              // 000000002A90: D1D30030 04C2B75A
	v_max3_f32 v48, v92, v93, v48                              // 000000002A98: D1D30030 04C2BB5C
	v_max3_f32 v48, v94, v95, v48                              // 000000002AA0: D1D30030 04C2BF5E
	ds_write_b32 v11, v48 offset:4224                          // 000000002AA8: D81A1080 0000300B
	buffer_load_dwordx4 a[24:27], v25, s[16:19], 0 offen       // 000000002AB0: E05C1000 80841819
	v_mul_u32_u24_dpp v38, v16, v51 row_newbcast:1 row_mask:0xf bank_mask:0xf// 000000002AB8: 104C66FA FF015110
	v_mul_u32_u24_dpp v39, v16, v51 row_newbcast:5 row_mask:0xf bank_mask:0xf// 000000002AC0: 104E66FA FF015510
	v_mul_u32_u24_dpp v40, v16, v51 row_newbcast:9 row_mask:0xf bank_mask:0xf// 000000002AC8: 105066FA FF015910
	v_mul_u32_u24_dpp v41, v16, v51 row_newbcast:13 row_mask:0xf bank_mask:0xf// 000000002AD0: 105266FA FF015D10
	v_add_u32_e32 v30, v38, v7                                 // 000000002AD8: 683C0F26
	v_add_u32_e32 v31, v39, v7                                 // 000000002ADC: 683E0F27
	v_add_u32_e32 v32, v40, v7                                 // 000000002AE0: 68400F28
	v_add_u32_e32 v33, v41, v7                                 // 000000002AE4: 68420F29
	s_waitcnt lgkmcnt(0)                                       // 000000002AE8: BF8CC07F
	s_barrier                                                  // 000000002AEC: BF8A0000
	ds_read_b32 v64, v10 offset:4224                           // 000000002AF0: D86C1080 4000000A
	ds_read_b32 v65, v10 offset:4288                           // 000000002AF8: D86C10C0 4100000A
	ds_read_b32 v66, v10 offset:4352                           // 000000002B00: D86C1100 4200000A
	ds_read_b32 v67, v10 offset:4416                           // 000000002B08: D86C1140 4300000A
	ds_read_b32 v68, v10 offset:4480                           // 000000002B10: D86C1180 4400000A
	ds_read_b32 v69, v10 offset:4544                           // 000000002B18: D86C11C0 4500000A
	ds_read_b32 v70, v10 offset:4608                           // 000000002B20: D86C1200 4600000A
	ds_read_b32 v71, v10 offset:4672                           // 000000002B28: D86C1240 4700000A
	ds_read_b32 v72, v10 offset:4736                           // 000000002B30: D86C1280 4800000A
	ds_read_b32 v73, v10 offset:4800                           // 000000002B38: D86C12C0 4900000A
	ds_read_b32 v74, v10 offset:4864                           // 000000002B40: D86C1300 4A00000A
	ds_read_b32 v75, v10 offset:4928                           // 000000002B48: D86C1340 4B00000A
	ds_read_b32 v76, v10 offset:4992                           // 000000002B50: D86C1380 4C00000A
	ds_read_b32 v77, v10 offset:5056                           // 000000002B58: D86C13C0 4D00000A
	ds_read_b32 v78, v10 offset:5120                           // 000000002B60: D86C1400 4E00000A
	ds_read_b32 v79, v10 offset:5184                           // 000000002B68: D86C1440 4F00000A
	buffer_load_dwordx4 a[28:31], v25, s[16:19], 0 offen offset:1024// 000000002B70: E05C1400 80841C19
	v_mul_f32_e32 v112, v49, v112                              // 000000002B78: 0AE0E131
	v_mul_f32_e32 v113, v49, v113                              // 000000002B7C: 0AE2E331
	v_mul_f32_e32 v114, v49, v114                              // 000000002B80: 0AE4E531
	v_mul_f32_e32 v115, v49, v115                              // 000000002B84: 0AE6E731
	v_or_b32_dpp v104, v108, v104 row_shr:8 row_mask:0xf bank_mask:0xf bound_ctrl:1// 000000002B88: 28D0D0FA FF09186C
	v_or_b32_dpp v105, v109, v105 row_shr:8 row_mask:0xf bank_mask:0xf bound_ctrl:1// 000000002B90: 28D2D2FA FF09186D
	v_or_b32_dpp v106, v110, v106 row_shr:8 row_mask:0xf bank_mask:0xf bound_ctrl:1// 000000002B98: 28D4D4FA FF09186E
	v_or_b32_dpp v107, v111, v107 row_shr:8 row_mask:0xf bank_mask:0xf bound_ctrl:1// 000000002BA0: 28D6D6FA FF09186F
	s_waitcnt lgkmcnt(0)                                       // 000000002BA8: BF8CC07F
	v_max3_f32 v48, v64, v65, v48                              // 000000002BAC: D1D30030 04C28340
	v_max3_f32 v48, v66, v67, v48                              // 000000002BB4: D1D30030 04C28742
	v_max3_f32 v48, v68, v69, v48                              // 000000002BBC: D1D30030 04C28B44
	v_max3_f32 v48, v70, v71, v48                              // 000000002BC4: D1D30030 04C28F46
	v_max3_f32 v48, v72, v73, v48                              // 000000002BCC: D1D30030 04C29348
	v_max3_f32 v48, v74, v75, v48                              // 000000002BD4: D1D30030 04C2974A
	v_max3_f32 v48, v76, v77, v48                              // 000000002BDC: D1D30030 04C29B4C
	v_max3_f32 v48, v78, v79, v48                              // 000000002BE4: D1D30030 04C29F4E
	buffer_load_dwordx4 a[64:67], v30, s[20:23], 0 offen       // 000000002BEC: E05C1000 8085401E
	v_cmp_eq_u32_e64 s[40:41], v52, v14                        // 000000002BF4: D0CA0028 00021D34
	s_nop 1                                                    // 000000002BFC: BF800001
	v_mov_b32_dpp v38, v48 row_ror:8 row_mask:0xf bank_mask:0xf// 000000002C00: 7E4C02FA FF012830
	v_max_f32_e32 v48, v48, v38                                // 000000002C08: 16604D30
	v_max_f32_e32 v15, v48, v14                                // 000000002C0C: 161E1D30
	v_mul_f32_e32 v50, s64, v15                                // 000000002C10: 0A641E40
	v_fma_f32 v88, v88, s64, -v50                              // 000000002C14: D1CB0058 84C88158
	v_fma_f32 v89, v89, s64, -v50                              // 000000002C1C: D1CB0059 84C88159
	v_fma_f32 v90, v90, s64, -v50                              // 000000002C24: D1CB005A 84C8815A
	v_fma_f32 v91, v91, s64, -v50                              // 000000002C2C: D1CB005B 84C8815B
	v_fma_f32 v92, v92, s64, -v50                              // 000000002C34: D1CB005C 84C8815C
	v_fma_f32 v93, v93, s64, -v50                              // 000000002C3C: D1CB005D 84C8815D
	v_fma_f32 v94, v94, s64, -v50                              // 000000002C44: D1CB005E 84C8815E
	v_fma_f32 v95, v95, s64, -v50                              // 000000002C4C: D1CB005F 84C8815F
	buffer_load_dwordx4 a[68:71], v31, s[20:23], 0 offen       // 000000002C54: E05C1000 8085441F
	v_exp_f32_e32 v88, v88                                     // 000000002C5C: 7EB04158
	v_exp_f32_e32 v89, v89                                     // 000000002C60: 7EB24159
	v_exp_f32_e32 v90, v90                                     // 000000002C64: 7EB4415A
	v_exp_f32_e32 v91, v91                                     // 000000002C68: 7EB6415B
	v_exp_f32_e32 v92, v92                                     // 000000002C6C: 7EB8415C
	v_exp_f32_e32 v93, v93                                     // 000000002C70: 7EBA415D
	v_exp_f32_e32 v94, v94                                     // 000000002C74: 7EBC415E
	v_exp_f32_e32 v95, v95                                     // 000000002C78: 7EBE415F
	buffer_load_dwordx4 a[72:75], v32, s[20:23], 0 offen       // 000000002C7C: E05C1000 80854820
	v_mul_f32_dpp v128, v126, v88 quad_perm:[0,0,0,0] row_mask:0xf bank_mask:0xf// 000000002C84: 0B00B0FA FF00007E
	v_mul_f32_dpp v129, v126, v89 quad_perm:[1,1,1,1] row_mask:0xf bank_mask:0xf// 000000002C8C: 0B02B2FA FF00557E
	v_mul_f32_dpp v130, v126, v90 quad_perm:[2,2,2,2] row_mask:0xf bank_mask:0xf// 000000002C94: 0B04B4FA FF00AA7E
	v_mul_f32_dpp v131, v126, v91 quad_perm:[3,3,3,3] row_mask:0xf bank_mask:0xf// 000000002C9C: 0B06B6FA FF00FF7E
	v_mul_f32_dpp v132, v127, v92 quad_perm:[0,0,0,0] row_mask:0xf bank_mask:0xf// 000000002CA4: 0B08B8FA FF00007F
	v_mul_f32_dpp v133, v127, v93 quad_perm:[1,1,1,1] row_mask:0xf bank_mask:0xf// 000000002CAC: 0B0ABAFA FF00557F
	v_mul_f32_dpp v134, v127, v94 quad_perm:[2,2,2,2] row_mask:0xf bank_mask:0xf// 000000002CB4: 0B0CBCFA FF00AA7F
	v_mul_f32_dpp v135, v127, v95 quad_perm:[3,3,3,3] row_mask:0xf bank_mask:0xf// 000000002CBC: 0B0EBEFA FF00FF7F
	v_mov_b32_e32 v48, 0x358637bd                              // 000000002CC4: 7E6002FF 358637BD
	v_max3_f32 v48, |v128|, |v129|, v48                        // 000000002CCC: D1D30330 04C30380
	v_max3_f32 v48, |v130|, |v131|, v48                        // 000000002CD4: D1D30330 04C30782
	v_max3_f32 v48, |v132|, |v133|, v48                        // 000000002CDC: D1D30330 04C30B84
	v_max3_f32 v48, |v134|, |v135|, v48                        // 000000002CE4: D1D30330 04C30F86
	buffer_load_dwordx4 a[76:79], v33, s[20:23], 0 offen       // 000000002CEC: E05C1000 80854C21
	ds_write_b32 v11, v48 offset:5248                          // 000000002CF4: D81A1480 0000300B
	v_sub_f32_e32 v49, v14, v15                                // 000000002CFC: 04621F0E
	v_cndmask_b32_e64 v49, v49, 0, s[40:41]                    // 000000002D00: D1000031 00A10131
	v_mov_b32_e32 v14, v15                                     // 000000002D08: 7E1C030F
	v_mul_f32_e32 v49, s64, v49                                // 000000002D0C: 0A626240
	v_exp_f32_e32 v49, v49                                     // 000000002D10: 7E624131
	s_waitcnt lgkmcnt(0)                                       // 000000002D14: BF8CC07F
	s_barrier                                                  // 000000002D18: BF8A0000
	ds_read_b32 v64, v10 offset:5248                           // 000000002D1C: D86C1480 4000000A
	ds_read_b32 v65, v10 offset:5312                           // 000000002D24: D86C14C0 4100000A
	ds_read_b32 v66, v10 offset:5376                           // 000000002D2C: D86C1500 4200000A
	ds_read_b32 v67, v10 offset:5440                           // 000000002D34: D86C1540 4300000A
	ds_read_b32 v68, v10 offset:5504                           // 000000002D3C: D86C1580 4400000A
	ds_read_b32 v69, v10 offset:5568                           // 000000002D44: D86C15C0 4500000A
	ds_read_b32 v70, v10 offset:5632                           // 000000002D4C: D86C1600 4600000A
	ds_read_b32 v71, v10 offset:5696                           // 000000002D54: D86C1640 4700000A
	ds_read_b32 v72, v10 offset:5760                           // 000000002D5C: D86C1680 4800000A
	ds_read_b32 v73, v10 offset:5824                           // 000000002D64: D86C16C0 4900000A
	ds_read_b32 v74, v10 offset:5888                           // 000000002D6C: D86C1700 4A00000A
	ds_read_b32 v75, v10 offset:5952                           // 000000002D74: D86C1740 4B00000A
	ds_read_b32 v76, v10 offset:6016                           // 000000002D7C: D86C1780 4C00000A
	ds_read_b32 v77, v10 offset:6080                           // 000000002D84: D86C17C0 4D00000A
	ds_read_b32 v78, v10 offset:6144                           // 000000002D8C: D86C1800 4E00000A
	ds_read_b32 v79, v10 offset:6208                           // 000000002D94: D86C1840 4F00000A
	v_mul_f32_e32 v42, v49, v42                                // 000000002D9C: 0A545531
	v_mov_b32_e32 v43, v88                                     // 000000002DA0: 7E560358
	v_add_f32_e32 v43, v89, v43                                // 000000002DA4: 02565759
	v_add_f32_e32 v43, v90, v43                                // 000000002DA8: 0256575A
	v_add_f32_e32 v43, v91, v43                                // 000000002DAC: 0256575B
	v_add_f32_e32 v43, v92, v43                                // 000000002DB0: 0256575C
	v_add_f32_e32 v43, v93, v43                                // 000000002DB4: 0256575D
	v_add_f32_e32 v43, v94, v43                                // 000000002DB8: 0256575E
	v_add_f32_e32 v43, v95, v43                                // 000000002DBC: 0256575F
	v_add_f32_e32 v42, v43, v42                                // 000000002DC0: 0254552B
	s_waitcnt lgkmcnt(0)                                       // 000000002DC4: BF8CC07F
	v_max3_f32 v48, |v64|, |v65|, v48                          // 000000002DC8: D1D30330 04C28340
	v_max3_f32 v48, |v66|, |v67|, v48                          // 000000002DD0: D1D30330 04C28742
	v_max3_f32 v48, |v68|, |v69|, v48                          // 000000002DD8: D1D30330 04C28B44
	v_max3_f32 v48, |v70|, |v71|, v48                          // 000000002DE0: D1D30330 04C28F46
	v_max3_f32 v48, |v72|, |v73|, v48                          // 000000002DE8: D1D30330 04C29348
	v_max3_f32 v48, |v74|, |v75|, v48                          // 000000002DF0: D1D30330 04C2974A
	v_max3_f32 v48, |v76|, |v77|, v48                          // 000000002DF8: D1D30330 04C29B4C
	v_max3_f32 v48, |v78|, |v79|, v48                          // 000000002E00: D1D30330 04C29F4E
	s_nop 2                                                    // 000000002E08: BF800002
	v_mov_b32_dpp v38, v48 row_ror:8 row_mask:0xf bank_mask:0xf// 000000002E0C: 7E4C02FA FF012830
	v_max_f32_e32 v48, v48, v38                                // 000000002E14: 16604D30
	v_rcp_f32_e32 v48, v48                                     // 000000002E18: 7E604530
	s_nop 1                                                    // 000000002E1C: BF800001
	v_mul_f32_e32 v48, 0x42fe0000, v48                         // 000000002E20: 0A6060FF 42FE0000
	v_mul_f32_e32 v88, v48, v128                               // 000000002E28: 0AB10130
	v_mul_f32_e32 v89, v48, v129                               // 000000002E2C: 0AB30330
	v_mul_f32_e32 v90, v48, v130                               // 000000002E30: 0AB50530
	v_mul_f32_e32 v91, v48, v131                               // 000000002E34: 0AB70730
	v_mul_f32_e32 v92, v48, v132                               // 000000002E38: 0AB90930
	v_mul_f32_e32 v93, v48, v133                               // 000000002E3C: 0ABB0B30
	v_mul_f32_e32 v94, v48, v134                               // 000000002E40: 0ABD0D30
	v_mul_f32_e32 v95, v48, v135                               // 000000002E44: 0ABF0F30
	v_cvt_i32_f32_e32 v88, v88                                 // 000000002E48: 7EB01158
	v_cvt_i32_f32_e32 v89, v89                                 // 000000002E4C: 7EB21159
	v_cvt_i32_f32_e32 v90, v90                                 // 000000002E50: 7EB4115A
	v_cvt_i32_f32_e32 v91, v91                                 // 000000002E54: 7EB6115B
	v_cvt_i32_f32_e32 v92, v92                                 // 000000002E58: 7EB8115C
	v_cvt_i32_f32_e32 v93, v93                                 // 000000002E5C: 7EBA115D
	v_cvt_i32_f32_e32 v94, v94                                 // 000000002E60: 7EBC115E
	v_cvt_i32_f32_e32 v95, v95                                 // 000000002E64: 7EBE115F
	v_perm_b32 v88, v89, v88, s53                              // 000000002E68: D1ED0058 00D6B159
	v_perm_b32 v88, v90, v88, s54                              // 000000002E70: D1ED0058 00DAB15A
	v_perm_b32 v88, v91, v88, s55                              // 000000002E78: D1ED0058 00DEB15B
	v_perm_b32 v89, v93, v92, s53                              // 000000002E80: D1ED0059 00D6B95D
	v_perm_b32 v89, v94, v89, s54                              // 000000002E88: D1ED0059 00DAB35E
	v_perm_b32 v89, v95, v89, s55                              // 000000002E90: D1ED0059 00DEB35F
	ds_write_b32 v13, v88 offset:6272                          // 000000002E98: D81A1880 0000580D
	ds_write_b32 v13, v89 offset:7296                          // 000000002EA0: D81A1C80 0000590D
	v_cvt_f32_i32_e32 v104, v104                               // 000000002EA8: 7ED00B68
	v_cvt_f32_i32_e32 v105, v105                               // 000000002EAC: 7ED20B69
	v_cvt_f32_i32_e32 v106, v106                               // 000000002EB0: 7ED40B6A
	v_cvt_f32_i32_e32 v107, v107                               // 000000002EB4: 7ED60B6B
	v_mul_f32_e32 v104, v47, v104                              // 000000002EB8: 0AD0D12F
	v_mul_f32_e32 v105, v47, v105                              // 000000002EBC: 0AD2D32F
	v_mul_f32_e32 v106, v47, v106                              // 000000002EC0: 0AD4D52F
	v_mul_f32_e32 v107, v47, v107                              // 000000002EC4: 0AD6D72F
	v_rcp_f32_e32 v47, v48                                     // 000000002EC8: 7E5E4530
	s_waitcnt lgkmcnt(0)                                       // 000000002ECC: BF8CC07F
	s_barrier                                                  // 000000002ED0: BF8A0000
	ds_read_b64 v[88:89], v12 offset:6272                      // 000000002ED4: D8EC1880 5800000C
	ds_read_b64 v[90:91], v12 offset:6400                      // 000000002EDC: D8EC1900 5A00000C
	ds_read_b64 v[92:93], v12 offset:7296                      // 000000002EE4: D8EC1C80 5C00000C
	ds_read_b64 v[94:95], v12 offset:7424                      // 000000002EEC: D8EC1D00 5E00000C
	v_add_f32_e32 v112, v112, v104                             // 000000002EF4: 02E0D170
	v_add_f32_e32 v113, v113, v105                             // 000000002EF8: 02E2D371
	v_add_f32_e32 v114, v114, v106                             // 000000002EFC: 02E4D572
	v_add_f32_e32 v115, v115, v107                             // 000000002F00: 02E6D773
	s_waitcnt lgkmcnt(3)                                       // 000000002F04: BF8CC37F
	v_mov_b32_dpp v96, v88 row_shl:8 row_mask:0xf bank_mask:0xf bound_ctrl:1// 000000002F08: 7EC002FA FF090858
	v_and_b32_e32 v88, v88, v9                                 // 000000002F10: 26B01358
	v_mov_b32_dpp v97, v89 row_shl:8 row_mask:0xf bank_mask:0xf bound_ctrl:1// 000000002F14: 7EC202FA FF090859
	v_and_b32_e32 v89, v89, v9                                 // 000000002F1C: 26B21359
	s_waitcnt lgkmcnt(2)                                       // 000000002F20: BF8CC27F
	v_mov_b32_dpp v98, v90 row_shl:8 row_mask:0xf bank_mask:0xf bound_ctrl:1// 000000002F24: 7EC402FA FF09085A
	v_and_b32_e32 v90, v90, v9                                 // 000000002F2C: 26B4135A
	v_mov_b32_dpp v99, v91 row_shl:8 row_mask:0xf bank_mask:0xf bound_ctrl:1// 000000002F30: 7EC602FA FF09085B
	v_and_b32_e32 v91, v91, v9                                 // 000000002F38: 26B6135B
	s_waitcnt lgkmcnt(1)                                       // 000000002F3C: BF8CC17F
	v_mov_b32_dpp v100, v92 row_shl:8 row_mask:0xf bank_mask:0xf bound_ctrl:1// 000000002F40: 7EC802FA FF09085C
	v_and_b32_e32 v92, v92, v9                                 // 000000002F48: 26B8135C
	v_mov_b32_dpp v101, v93 row_shl:8 row_mask:0xf bank_mask:0xf bound_ctrl:1// 000000002F4C: 7ECA02FA FF09085D
	v_and_b32_e32 v93, v93, v9                                 // 000000002F54: 26BA135D
	s_waitcnt lgkmcnt(0)                                       // 000000002F58: BF8CC07F
	v_mov_b32_dpp v102, v94 row_shl:8 row_mask:0xf bank_mask:0xf bound_ctrl:1// 000000002F5C: 7ECC02FA FF09085E
	v_and_b32_e32 v94, v94, v9                                 // 000000002F64: 26BC135E
	v_mov_b32_dpp v103, v95 row_shl:8 row_mask:0xf bank_mask:0xf bound_ctrl:1// 000000002F68: 7ECE02FA FF09085F
	v_and_b32_e32 v95, v95, v9                                 // 000000002F70: 26BE135F
	s_waitcnt vmcnt(15)                                        // 000000002F74: BF8C0F7F
	v_mfma_i32_16x16x32_i8 v[104:107], a[96:97], v[88:89], 0   // 000000002F78: D3D70068 0A02B160
	v_mfma_i32_16x16x32_i8 v[104:107], a[98:99], v[90:91], v[104:107]// 000000002F80: D3D70068 0DA2B562
	buffer_load_dwordx4 a[80:83], v30, s[20:23], 0 offen offset:1024// 000000002F88: E05C1400 8085501E
	v_mfma_i32_16x16x32_i8 v[104:107], a[100:101], v[92:93], v[104:107]// 000000002F90: D3D70068 0DA2B964
	v_mfma_i32_16x16x32_i8 v[104:107], a[102:103], v[94:95], v[104:107]// 000000002F98: D3D70068 0DA2BD66
	v_mfma_i32_16x16x32_i8 v[104:107], a[104:105], v[96:97], v[104:107]// 000000002FA0: D3D70068 0DA2C168
	v_mfma_i32_16x16x32_i8 v[104:107], a[106:107], v[98:99], v[104:107]// 000000002FA8: D3D70068 0DA2C56A
	buffer_load_dwordx4 a[84:87], v31, s[20:23], 0 offen offset:1024// 000000002FB0: E05C1400 8085541F
	v_mfma_i32_16x16x32_i8 v[104:107], a[108:109], v[100:101], v[104:107]// 000000002FB8: D3D70068 0DA2C96C
	v_mfma_i32_16x16x32_i8 v[104:107], a[110:111], v[102:103], v[104:107]// 000000002FC0: D3D70068 0DA2CD6E
	v_mfma_i32_16x16x32_i8 v[108:111], a[112:113], v[88:89], 0 // 000000002FC8: D3D7006C 0A02B170
	v_mfma_i32_16x16x32_i8 v[108:111], a[114:115], v[90:91], v[108:111]// 000000002FD0: D3D7006C 0DB2B572
	buffer_load_dwordx4 a[88:91], v32, s[20:23], 0 offen offset:1024// 000000002FD8: E05C1400 80855820
	v_mfma_i32_16x16x32_i8 v[108:111], a[116:117], v[92:93], v[108:111]// 000000002FE0: D3D7006C 0DB2B974
	v_mfma_i32_16x16x32_i8 v[108:111], a[118:119], v[94:95], v[108:111]// 000000002FE8: D3D7006C 0DB2BD76
	v_mfma_i32_16x16x32_i8 v[108:111], a[120:121], v[96:97], v[108:111]// 000000002FF0: D3D7006C 0DB2C178
	v_mfma_i32_16x16x32_i8 v[108:111], a[122:123], v[98:99], v[108:111]// 000000002FF8: D3D7006C 0DB2C57A
	buffer_load_dwordx4 a[92:95], v33, s[20:23], 0 offen offset:1024// 000000003000: E05C1400 80855C21
	v_mfma_i32_16x16x32_i8 v[108:111], a[124:125], v[100:101], v[108:111]// 000000003008: D3D7006C 0DB2C97C
	s_lshr_b32 s57, s70, 4                                     // 000000003010: 8F398446
	s_add_u32 s57, 48, s57                                     // 000000003014: 803939B0
	v_mfma_i32_16x16x32_i8 v[108:111], a[126:127], v[102:103], v[108:111]// 000000003018: D3D7006C 0DB2CD7E
	s_cmp_ge_u32 s57, s73                                      // 000000003020: BF094939
	s_cselect_b32 s56, 0, s56                                  // 000000003024: 85383880
	v_add_u32_e32 v1, s56, v1                                  // 000000003028: 68020238
	s_addk_i32 s70, 0x100                                      // 00000000302C: B7460100
	s_cmp_lt_i32 s70, s71                                      // 000000003030: BF044746
	s_cbranch_scc0 label_05CF                                  // 000000003034: BF840001
	s_branch label_01EA                                        // 000000003038: BF82FC1B

000000000000303c <label_05CF>:
	s_nop 0                                                    // 00000000303C: BF800000
	s_nop 0                                                    // 000000003040: BF800000
	s_branch label_09B7                                        // 000000003044: BF8203E5

0000000000003048 <label_05D2>:
	s_waitcnt vmcnt(8) lgkmcnt(0)                              // 000000003048: BF8C0078
	v_mul_u32_u24_dpp v38, v17, v51 row_newbcast:0 row_mask:0xf bank_mask:0xf// 00000000304C: 104C66FA FF015011
	v_mul_u32_u24_dpp v39, v17, v51 row_newbcast:4 row_mask:0xf bank_mask:0xf// 000000003054: 104E66FA FF015411
	v_mul_u32_u24_dpp v40, v17, v51 row_newbcast:8 row_mask:0xf bank_mask:0xf// 00000000305C: 105066FA FF015811
	v_mul_u32_u24_dpp v41, v17, v51 row_newbcast:12 row_mask:0xf bank_mask:0xf// 000000003064: 105266FA FF015C11
	v_add_u32_e32 v26, v38, v6                                 // 00000000306C: 68340D26
	v_add_u32_e32 v27, v39, v6                                 // 000000003070: 68360D27
	v_add_u32_e32 v28, v40, v6                                 // 000000003074: 68380D28
	v_add_u32_e32 v29, v41, v6                                 // 000000003078: 683A0D29
	v_mul_u32_u24_dpp v38, v17, v61 quad_perm:[0,0,0,0] row_mask:0xf bank_mask:0xf// 00000000307C: 104C7AFA FF000011
	v_add_u32_e32 v3, v38, v57                                 // 000000003084: 68067326
	v_mul_u32_u24_dpp v38, v17, v61 quad_perm:[0,0,0,0] row_mask:0xf bank_mask:0xf// 000000003088: 104C7AFA FF000011
	v_add_u32_e32 v54, v38, v58                                // 000000003090: 686C7526
	v_mfma_i32_16x16x32_i8 v[88:91], a[0:1], v[80:81], 0       // 000000003094: D3D70058 0A02A100
	buffer_load_dwordx4 a[32:35], v26, s[16:19], 0 offen       // 00000000309C: E05C1000 8084201A
	v_mfma_i32_16x16x32_i8 v[88:91], a[2:3], v[82:83], v[88:91]// 0000000030A4: D3D70058 0D62A502
	v_mfma_i32_16x16x32_i8 v[88:91], a[4:5], v[84:85], v[88:91]// 0000000030AC: D3D70058 0D62A904
	buffer_load_dword v16, v1, s[24:27], 0 offen               // 0000000030B4: E0501000 80061001
	v_mfma_i32_16x16x32_i8 v[88:91], a[6:7], v[86:87], v[88:91]// 0000000030BC: D3D70058 0D62AD06
	v_mfma_i32_16x16x32_i8 v[92:95], a[8:9], v[80:81], 0       // 0000000030C4: D3D7005C 0A02A108
	buffer_load_dwordx4 a[36:39], v26, s[16:19], 0 offen offset:1024// 0000000030CC: E05C1400 8084241A
	v_mfma_i32_16x16x32_i8 v[92:95], a[10:11], v[82:83], v[92:95]// 0000000030D4: D3D7005C 0D72A50A
	v_mfma_i32_16x16x32_i8 v[92:95], a[12:13], v[84:85], v[92:95]// 0000000030DC: D3D7005C 0D72A90C
	v_mfma_i32_16x16x32_i8 v[92:95], a[14:15], v[86:87], v[92:95]// 0000000030E4: D3D7005C 0D72AD0E
	v_mfma_i32_16x16x32_i8 v[96:99], a[16:17], v[80:81], 0     // 0000000030EC: D3D70060 0A02A110
	buffer_load_dwordx4 a[40:43], v27, s[16:19], 0 offen       // 0000000030F4: E05C1000 8084281B
	v_mfma_i32_16x16x32_i8 v[96:99], a[18:19], v[82:83], v[96:99]// 0000000030FC: D3D70060 0D82A512
	v_mfma_i32_16x16x32_i8 v[96:99], a[20:21], v[84:85], v[96:99]// 000000003104: D3D70060 0D82A914
	v_mfma_i32_16x16x32_i8 v[96:99], a[22:23], v[86:87], v[96:99]// 00000000310C: D3D70060 0D82AD16
	v_mfma_i32_16x16x32_i8 v[100:103], a[24:25], v[80:81], 0   // 000000003114: D3D70064 0A02A118
	buffer_load_dwordx4 a[44:47], v27, s[16:19], 0 offen offset:1024// 00000000311C: E05C1400 80842C1B
	v_mfma_i32_16x16x32_i8 v[100:103], a[26:27], v[82:83], v[100:103]// 000000003124: D3D70064 0D92A51A
	v_mfma_i32_16x16x32_i8 v[100:103], a[28:29], v[84:85], v[100:103]// 00000000312C: D3D70064 0D92A91C
	v_mfma_i32_16x16x32_i8 v[100:103], a[30:31], v[86:87], v[100:103]// 000000003134: D3D70064 0D92AD1E
	buffer_load_dword v45, v3, s[32:35], 0 offen               // 00000000313C: E0501000 80082D03
	v_mov_b32_dpp v38, v44 row_shr:4 row_mask:0xf bank_mask:0xf// 000000003144: 7E4C02FA FF01142C
	v_mov_b32_dpp v39, v44 row_shl:4 row_mask:0xf bank_mask:0xf// 00000000314C: 7E4E02FA FF01042C
	v_cndmask_b32_e64 v124, v44, v38, s[44:45]                 // 000000003154: D100007C 00B24D2C
	v_cndmask_b32_e64 v125, v39, v44, s[44:45]                 // 00000000315C: D100007D 00B25927
	v_mov_b32_dpp v38, v55 row_shr:4 row_mask:0xf bank_mask:0xf// 000000003164: 7E4C02FA FF011437
	v_mov_b32_dpp v39, v55 row_shl:4 row_mask:0xf bank_mask:0xf// 00000000316C: 7E4E02FA FF010437
	v_cndmask_b32_e64 v126, v55, v38, s[44:45]                 // 000000003174: D100007E 00B24D37
	v_cndmask_b32_e64 v127, v39, v55, s[44:45]                 // 00000000317C: D100007F 00B26F27
	v_or_b32_dpp v88, v96, v88 row_shr:8 row_mask:0xf bank_mask:0xf bound_ctrl:1// 000000003184: 28B0B0FA FF091860
	v_or_b32_dpp v89, v97, v89 row_shr:8 row_mask:0xf bank_mask:0xf bound_ctrl:1// 00000000318C: 28B2B2FA FF091861
	v_or_b32_dpp v90, v98, v90 row_shr:8 row_mask:0xf bank_mask:0xf bound_ctrl:1// 000000003194: 28B4B4FA FF091862
	v_or_b32_dpp v91, v99, v91 row_shr:8 row_mask:0xf bank_mask:0xf bound_ctrl:1// 00000000319C: 28B6B6FA FF091863
	v_or_b32_dpp v92, v100, v92 row_shr:8 row_mask:0xf bank_mask:0xf bound_ctrl:1// 0000000031A4: 28B8B8FA FF091864
	v_or_b32_dpp v93, v101, v93 row_shr:8 row_mask:0xf bank_mask:0xf bound_ctrl:1// 0000000031AC: 28BABAFA FF091865
	v_or_b32_dpp v94, v102, v94 row_shr:8 row_mask:0xf bank_mask:0xf bound_ctrl:1// 0000000031B4: 28BCBCFA FF091866
	v_or_b32_dpp v95, v103, v95 row_shr:8 row_mask:0xf bank_mask:0xf bound_ctrl:1// 0000000031BC: 28BEBEFA FF091867
	buffer_load_dword v56, v54, s[36:39], 0 offen              // 0000000031C4: E0501000 80093836
	v_cvt_f32_i32_e32 v88, v88                                 // 0000000031CC: 7EB00B58
	v_cvt_f32_i32_e32 v89, v89                                 // 0000000031D0: 7EB20B59
	v_cvt_f32_i32_e32 v90, v90                                 // 0000000031D4: 7EB40B5A
	v_cvt_f32_i32_e32 v91, v91                                 // 0000000031D8: 7EB60B5B
	v_cvt_f32_i32_e32 v92, v92                                 // 0000000031DC: 7EB80B5C
	v_cvt_f32_i32_e32 v93, v93                                 // 0000000031E0: 7EBA0B5D
	v_cvt_f32_i32_e32 v94, v94                                 // 0000000031E4: 7EBC0B5E
	v_cvt_f32_i32_e32 v95, v95                                 // 0000000031E8: 7EBE0B5F
	v_mul_f32_e32 v88, v46, v88                                // 0000000031EC: 0AB0B12E
	v_mul_f32_e32 v89, v46, v89                                // 0000000031F0: 0AB2B32E
	v_mul_f32_e32 v90, v46, v90                                // 0000000031F4: 0AB4B52E
	v_mul_f32_e32 v91, v46, v91                                // 0000000031F8: 0AB6B72E
	v_mul_f32_e32 v92, v46, v92                                // 0000000031FC: 0AB8B92E
	v_mul_f32_e32 v93, v46, v93                                // 000000003200: 0ABABB2E
	v_mul_f32_e32 v94, v46, v94                                // 000000003204: 0ABCBD2E
	v_mul_f32_e32 v95, v46, v95                                // 000000003208: 0ABEBF2E
	buffer_load_dwordx4 a[48:51], v28, s[16:19], 0 offen       // 00000000320C: E05C1000 8084301C
	v_mul_f32_dpp v88, v124, v88 quad_perm:[0,0,0,0] row_mask:0xf bank_mask:0xf// 000000003214: 0AB0B0FA FF00007C
	v_mul_f32_dpp v89, v124, v89 quad_perm:[1,1,1,1] row_mask:0xf bank_mask:0xf// 00000000321C: 0AB2B2FA FF00557C
	v_mul_f32_dpp v90, v124, v90 quad_perm:[2,2,2,2] row_mask:0xf bank_mask:0xf// 000000003224: 0AB4B4FA FF00AA7C
	v_mul_f32_dpp v91, v124, v91 quad_perm:[3,3,3,3] row_mask:0xf bank_mask:0xf// 00000000322C: 0AB6B6FA FF00FF7C
	v_mul_f32_dpp v92, v125, v92 quad_perm:[0,0,0,0] row_mask:0xf bank_mask:0xf// 000000003234: 0AB8B8FA FF00007D
	v_mul_f32_dpp v93, v125, v93 quad_perm:[1,1,1,1] row_mask:0xf bank_mask:0xf// 00000000323C: 0ABABAFA FF00557D
	v_mul_f32_dpp v94, v125, v94 quad_perm:[2,2,2,2] row_mask:0xf bank_mask:0xf// 000000003244: 0ABCBCFA FF00AA7D
	v_mul_f32_dpp v95, v125, v95 quad_perm:[3,3,3,3] row_mask:0xf bank_mask:0xf// 00000000324C: 0ABEBEFA FF00FF7D
	buffer_load_dwordx4 a[52:55], v28, s[16:19], 0 offen offset:1024// 000000003254: E05C1400 8084341C
	v_mov_b32_e32 v48, v88                                     // 00000000325C: 7E600358
	v_max3_f32 v48, v88, v89, v48                              // 000000003260: D1D30030 04C2B358
	v_max3_f32 v48, v90, v91, v48                              // 000000003268: D1D30030 04C2B75A
	v_max3_f32 v48, v92, v93, v48                              // 000000003270: D1D30030 04C2BB5C
	v_max3_f32 v48, v94, v95, v48                              // 000000003278: D1D30030 04C2BF5E
	ds_write_b32 v11, v48 offset:4224                          // 000000003280: D81A1080 0000300B
	buffer_load_dwordx4 a[56:59], v29, s[16:19], 0 offen       // 000000003288: E05C1000 8084381D
	v_mul_u32_u24_dpp v38, v17, v51 row_newbcast:1 row_mask:0xf bank_mask:0xf// 000000003290: 104C66FA FF015111
	v_mul_u32_u24_dpp v39, v17, v51 row_newbcast:5 row_mask:0xf bank_mask:0xf// 000000003298: 104E66FA FF015511
	v_mul_u32_u24_dpp v40, v17, v51 row_newbcast:9 row_mask:0xf bank_mask:0xf// 0000000032A0: 105066FA FF015911
	v_mul_u32_u24_dpp v41, v17, v51 row_newbcast:13 row_mask:0xf bank_mask:0xf// 0000000032A8: 105266FA FF015D11
	v_add_u32_e32 v34, v38, v7                                 // 0000000032B0: 68440F26
	v_add_u32_e32 v35, v39, v7                                 // 0000000032B4: 68460F27
	v_add_u32_e32 v36, v40, v7                                 // 0000000032B8: 68480F28
	v_add_u32_e32 v37, v41, v7                                 // 0000000032BC: 684A0F29
	s_waitcnt lgkmcnt(0)                                       // 0000000032C0: BF8CC07F
	s_barrier                                                  // 0000000032C4: BF8A0000
	ds_read_b32 v64, v10 offset:4224                           // 0000000032C8: D86C1080 4000000A
	ds_read_b32 v65, v10 offset:4288                           // 0000000032D0: D86C10C0 4100000A
	ds_read_b32 v66, v10 offset:4352                           // 0000000032D8: D86C1100 4200000A
	ds_read_b32 v67, v10 offset:4416                           // 0000000032E0: D86C1140 4300000A
	ds_read_b32 v68, v10 offset:4480                           // 0000000032E8: D86C1180 4400000A
	ds_read_b32 v69, v10 offset:4544                           // 0000000032F0: D86C11C0 4500000A
	ds_read_b32 v70, v10 offset:4608                           // 0000000032F8: D86C1200 4600000A
	ds_read_b32 v71, v10 offset:4672                           // 000000003300: D86C1240 4700000A
	ds_read_b32 v72, v10 offset:4736                           // 000000003308: D86C1280 4800000A
	ds_read_b32 v73, v10 offset:4800                           // 000000003310: D86C12C0 4900000A
	ds_read_b32 v74, v10 offset:4864                           // 000000003318: D86C1300 4A00000A
	ds_read_b32 v75, v10 offset:4928                           // 000000003320: D86C1340 4B00000A
	ds_read_b32 v76, v10 offset:4992                           // 000000003328: D86C1380 4C00000A
	ds_read_b32 v77, v10 offset:5056                           // 000000003330: D86C13C0 4D00000A
	ds_read_b32 v78, v10 offset:5120                           // 000000003338: D86C1400 4E00000A
	ds_read_b32 v79, v10 offset:5184                           // 000000003340: D86C1440 4F00000A
	buffer_load_dwordx4 a[60:63], v29, s[16:19], 0 offen offset:1024// 000000003348: E05C1400 80843C1D
	v_mul_f32_e32 v112, v49, v112                              // 000000003350: 0AE0E131
	v_mul_f32_e32 v113, v49, v113                              // 000000003354: 0AE2E331
	v_mul_f32_e32 v114, v49, v114                              // 000000003358: 0AE4E531
	v_mul_f32_e32 v115, v49, v115                              // 00000000335C: 0AE6E731
	v_or_b32_dpp v104, v108, v104 row_shr:8 row_mask:0xf bank_mask:0xf bound_ctrl:1// 000000003360: 28D0D0FA FF09186C
	v_or_b32_dpp v105, v109, v105 row_shr:8 row_mask:0xf bank_mask:0xf bound_ctrl:1// 000000003368: 28D2D2FA FF09186D
	v_or_b32_dpp v106, v110, v106 row_shr:8 row_mask:0xf bank_mask:0xf bound_ctrl:1// 000000003370: 28D4D4FA FF09186E
	v_or_b32_dpp v107, v111, v107 row_shr:8 row_mask:0xf bank_mask:0xf bound_ctrl:1// 000000003378: 28D6D6FA FF09186F
	s_waitcnt lgkmcnt(0)                                       // 000000003380: BF8CC07F
	v_max3_f32 v48, v64, v65, v48                              // 000000003384: D1D30030 04C28340
	v_max3_f32 v48, v66, v67, v48                              // 00000000338C: D1D30030 04C28742
	v_max3_f32 v48, v68, v69, v48                              // 000000003394: D1D30030 04C28B44
	v_max3_f32 v48, v70, v71, v48                              // 00000000339C: D1D30030 04C28F46
	v_max3_f32 v48, v72, v73, v48                              // 0000000033A4: D1D30030 04C29348
	v_max3_f32 v48, v74, v75, v48                              // 0000000033AC: D1D30030 04C2974A
	v_max3_f32 v48, v76, v77, v48                              // 0000000033B4: D1D30030 04C29B4C
	v_max3_f32 v48, v78, v79, v48                              // 0000000033BC: D1D30030 04C29F4E
	buffer_load_dwordx4 a[96:99], v34, s[20:23], 0 offen       // 0000000033C4: E05C1000 80856022
	v_cmp_eq_u32_e64 s[40:41], v52, v14                        // 0000000033CC: D0CA0028 00021D34
	s_nop 1                                                    // 0000000033D4: BF800001
	v_mov_b32_dpp v38, v48 row_ror:8 row_mask:0xf bank_mask:0xf// 0000000033D8: 7E4C02FA FF012830
	v_max_f32_e32 v48, v48, v38                                // 0000000033E0: 16604D30
	v_max_f32_e32 v15, v48, v14                                // 0000000033E4: 161E1D30
	v_mul_f32_e32 v50, s64, v15                                // 0000000033E8: 0A641E40
	v_fma_f32 v88, v88, s64, -v50                              // 0000000033EC: D1CB0058 84C88158
	v_fma_f32 v89, v89, s64, -v50                              // 0000000033F4: D1CB0059 84C88159
	v_fma_f32 v90, v90, s64, -v50                              // 0000000033FC: D1CB005A 84C8815A
	v_fma_f32 v91, v91, s64, -v50                              // 000000003404: D1CB005B 84C8815B
	v_fma_f32 v92, v92, s64, -v50                              // 00000000340C: D1CB005C 84C8815C
	v_fma_f32 v93, v93, s64, -v50                              // 000000003414: D1CB005D 84C8815D
	v_fma_f32 v94, v94, s64, -v50                              // 00000000341C: D1CB005E 84C8815E
	v_fma_f32 v95, v95, s64, -v50                              // 000000003424: D1CB005F 84C8815F
	buffer_load_dwordx4 a[100:103], v35, s[20:23], 0 offen     // 00000000342C: E05C1000 80856423
	v_exp_f32_e32 v88, v88                                     // 000000003434: 7EB04158
	v_exp_f32_e32 v89, v89                                     // 000000003438: 7EB24159
	v_exp_f32_e32 v90, v90                                     // 00000000343C: 7EB4415A
	v_exp_f32_e32 v91, v91                                     // 000000003440: 7EB6415B
	v_exp_f32_e32 v92, v92                                     // 000000003444: 7EB8415C
	v_exp_f32_e32 v93, v93                                     // 000000003448: 7EBA415D
	v_exp_f32_e32 v94, v94                                     // 00000000344C: 7EBC415E
	v_exp_f32_e32 v95, v95                                     // 000000003450: 7EBE415F
	buffer_load_dwordx4 a[104:107], v36, s[20:23], 0 offen     // 000000003454: E05C1000 80856824
	v_mul_f32_dpp v128, v126, v88 quad_perm:[0,0,0,0] row_mask:0xf bank_mask:0xf// 00000000345C: 0B00B0FA FF00007E
	v_mul_f32_dpp v129, v126, v89 quad_perm:[1,1,1,1] row_mask:0xf bank_mask:0xf// 000000003464: 0B02B2FA FF00557E
	v_mul_f32_dpp v130, v126, v90 quad_perm:[2,2,2,2] row_mask:0xf bank_mask:0xf// 00000000346C: 0B04B4FA FF00AA7E
	v_mul_f32_dpp v131, v126, v91 quad_perm:[3,3,3,3] row_mask:0xf bank_mask:0xf// 000000003474: 0B06B6FA FF00FF7E
	v_mul_f32_dpp v132, v127, v92 quad_perm:[0,0,0,0] row_mask:0xf bank_mask:0xf// 00000000347C: 0B08B8FA FF00007F
	v_mul_f32_dpp v133, v127, v93 quad_perm:[1,1,1,1] row_mask:0xf bank_mask:0xf// 000000003484: 0B0ABAFA FF00557F
	v_mul_f32_dpp v134, v127, v94 quad_perm:[2,2,2,2] row_mask:0xf bank_mask:0xf// 00000000348C: 0B0CBCFA FF00AA7F
	v_mul_f32_dpp v135, v127, v95 quad_perm:[3,3,3,3] row_mask:0xf bank_mask:0xf// 000000003494: 0B0EBEFA FF00FF7F
	v_mov_b32_e32 v48, 0x358637bd                              // 00000000349C: 7E6002FF 358637BD
	v_max3_f32 v48, |v128|, |v129|, v48                        // 0000000034A4: D1D30330 04C30380
	v_max3_f32 v48, |v130|, |v131|, v48                        // 0000000034AC: D1D30330 04C30782
	v_max3_f32 v48, |v132|, |v133|, v48                        // 0000000034B4: D1D30330 04C30B84
	v_max3_f32 v48, |v134|, |v135|, v48                        // 0000000034BC: D1D30330 04C30F86
	buffer_load_dwordx4 a[108:111], v37, s[20:23], 0 offen     // 0000000034C4: E05C1000 80856C25
	ds_write_b32 v11, v48 offset:5248                          // 0000000034CC: D81A1480 0000300B
	v_sub_f32_e32 v49, v14, v15                                // 0000000034D4: 04621F0E
	v_cndmask_b32_e64 v49, v49, 0, s[40:41]                    // 0000000034D8: D1000031 00A10131
	v_mov_b32_e32 v14, v15                                     // 0000000034E0: 7E1C030F
	v_mul_f32_e32 v49, s64, v49                                // 0000000034E4: 0A626240
	v_exp_f32_e32 v49, v49                                     // 0000000034E8: 7E624131
	s_waitcnt lgkmcnt(0)                                       // 0000000034EC: BF8CC07F
	s_barrier                                                  // 0000000034F0: BF8A0000
	ds_read_b32 v64, v10 offset:5248                           // 0000000034F4: D86C1480 4000000A
	ds_read_b32 v65, v10 offset:5312                           // 0000000034FC: D86C14C0 4100000A
	ds_read_b32 v66, v10 offset:5376                           // 000000003504: D86C1500 4200000A
	ds_read_b32 v67, v10 offset:5440                           // 00000000350C: D86C1540 4300000A
	ds_read_b32 v68, v10 offset:5504                           // 000000003514: D86C1580 4400000A
	ds_read_b32 v69, v10 offset:5568                           // 00000000351C: D86C15C0 4500000A
	ds_read_b32 v70, v10 offset:5632                           // 000000003524: D86C1600 4600000A
	ds_read_b32 v71, v10 offset:5696                           // 00000000352C: D86C1640 4700000A
	ds_read_b32 v72, v10 offset:5760                           // 000000003534: D86C1680 4800000A
	ds_read_b32 v73, v10 offset:5824                           // 00000000353C: D86C16C0 4900000A
	ds_read_b32 v74, v10 offset:5888                           // 000000003544: D86C1700 4A00000A
	ds_read_b32 v75, v10 offset:5952                           // 00000000354C: D86C1740 4B00000A
	ds_read_b32 v76, v10 offset:6016                           // 000000003554: D86C1780 4C00000A
	ds_read_b32 v77, v10 offset:6080                           // 00000000355C: D86C17C0 4D00000A
	ds_read_b32 v78, v10 offset:6144                           // 000000003564: D86C1800 4E00000A
	ds_read_b32 v79, v10 offset:6208                           // 00000000356C: D86C1840 4F00000A
	v_mul_f32_e32 v42, v49, v42                                // 000000003574: 0A545531
	v_mov_b32_e32 v43, v88                                     // 000000003578: 7E560358
	v_add_f32_e32 v43, v89, v43                                // 00000000357C: 02565759
	v_add_f32_e32 v43, v90, v43                                // 000000003580: 0256575A
	v_add_f32_e32 v43, v91, v43                                // 000000003584: 0256575B
	v_add_f32_e32 v43, v92, v43                                // 000000003588: 0256575C
	v_add_f32_e32 v43, v93, v43                                // 00000000358C: 0256575D
	v_add_f32_e32 v43, v94, v43                                // 000000003590: 0256575E
	v_add_f32_e32 v43, v95, v43                                // 000000003594: 0256575F
	v_add_f32_e32 v42, v43, v42                                // 000000003598: 0254552B
	s_waitcnt lgkmcnt(0)                                       // 00000000359C: BF8CC07F
	v_max3_f32 v48, |v64|, |v65|, v48                          // 0000000035A0: D1D30330 04C28340
	v_max3_f32 v48, |v66|, |v67|, v48                          // 0000000035A8: D1D30330 04C28742
	v_max3_f32 v48, |v68|, |v69|, v48                          // 0000000035B0: D1D30330 04C28B44
	v_max3_f32 v48, |v70|, |v71|, v48                          // 0000000035B8: D1D30330 04C28F46
	v_max3_f32 v48, |v72|, |v73|, v48                          // 0000000035C0: D1D30330 04C29348
	v_max3_f32 v48, |v74|, |v75|, v48                          // 0000000035C8: D1D30330 04C2974A
	v_max3_f32 v48, |v76|, |v77|, v48                          // 0000000035D0: D1D30330 04C29B4C
	v_max3_f32 v48, |v78|, |v79|, v48                          // 0000000035D8: D1D30330 04C29F4E
	s_nop 2                                                    // 0000000035E0: BF800002
	v_mov_b32_dpp v38, v48 row_ror:8 row_mask:0xf bank_mask:0xf// 0000000035E4: 7E4C02FA FF012830
	v_max_f32_e32 v48, v48, v38                                // 0000000035EC: 16604D30
	v_rcp_f32_e32 v48, v48                                     // 0000000035F0: 7E604530
	s_nop 1                                                    // 0000000035F4: BF800001
	v_mul_f32_e32 v48, 0x42fe0000, v48                         // 0000000035F8: 0A6060FF 42FE0000
	v_mul_f32_e32 v88, v48, v128                               // 000000003600: 0AB10130
	v_mul_f32_e32 v89, v48, v129                               // 000000003604: 0AB30330
	v_mul_f32_e32 v90, v48, v130                               // 000000003608: 0AB50530
	v_mul_f32_e32 v91, v48, v131                               // 00000000360C: 0AB70730
	v_mul_f32_e32 v92, v48, v132                               // 000000003610: 0AB90930
	v_mul_f32_e32 v93, v48, v133                               // 000000003614: 0ABB0B30
	v_mul_f32_e32 v94, v48, v134                               // 000000003618: 0ABD0D30
	v_mul_f32_e32 v95, v48, v135                               // 00000000361C: 0ABF0F30
	v_cvt_i32_f32_e32 v88, v88                                 // 000000003620: 7EB01158
	v_cvt_i32_f32_e32 v89, v89                                 // 000000003624: 7EB21159
	v_cvt_i32_f32_e32 v90, v90                                 // 000000003628: 7EB4115A
	v_cvt_i32_f32_e32 v91, v91                                 // 00000000362C: 7EB6115B
	v_cvt_i32_f32_e32 v92, v92                                 // 000000003630: 7EB8115C
	v_cvt_i32_f32_e32 v93, v93                                 // 000000003634: 7EBA115D
	v_cvt_i32_f32_e32 v94, v94                                 // 000000003638: 7EBC115E
	v_cvt_i32_f32_e32 v95, v95                                 // 00000000363C: 7EBE115F
	v_perm_b32 v88, v89, v88, s53                              // 000000003640: D1ED0058 00D6B159
	v_perm_b32 v88, v90, v88, s54                              // 000000003648: D1ED0058 00DAB15A
	v_perm_b32 v88, v91, v88, s55                              // 000000003650: D1ED0058 00DEB15B
	v_perm_b32 v89, v93, v92, s53                              // 000000003658: D1ED0059 00D6B95D
	v_perm_b32 v89, v94, v89, s54                              // 000000003660: D1ED0059 00DAB35E
	v_perm_b32 v89, v95, v89, s55                              // 000000003668: D1ED0059 00DEB35F
	ds_write_b32 v13, v88 offset:6272                          // 000000003670: D81A1880 0000580D
	ds_write_b32 v13, v89 offset:7296                          // 000000003678: D81A1C80 0000590D
	v_cvt_f32_i32_e32 v104, v104                               // 000000003680: 7ED00B68
	v_cvt_f32_i32_e32 v105, v105                               // 000000003684: 7ED20B69
	v_cvt_f32_i32_e32 v106, v106                               // 000000003688: 7ED40B6A
	v_cvt_f32_i32_e32 v107, v107                               // 00000000368C: 7ED60B6B
	v_mul_f32_e32 v104, v47, v104                              // 000000003690: 0AD0D12F
	v_mul_f32_e32 v105, v47, v105                              // 000000003694: 0AD2D32F
	v_mul_f32_e32 v106, v47, v106                              // 000000003698: 0AD4D52F
	v_mul_f32_e32 v107, v47, v107                              // 00000000369C: 0AD6D72F
	v_rcp_f32_e32 v47, v48                                     // 0000000036A0: 7E5E4530
	s_waitcnt lgkmcnt(0)                                       // 0000000036A4: BF8CC07F
	s_barrier                                                  // 0000000036A8: BF8A0000
	ds_read_b64 v[88:89], v12 offset:6272                      // 0000000036AC: D8EC1880 5800000C
	ds_read_b64 v[90:91], v12 offset:6400                      // 0000000036B4: D8EC1900 5A00000C
	ds_read_b64 v[92:93], v12 offset:7296                      // 0000000036BC: D8EC1C80 5C00000C
	ds_read_b64 v[94:95], v12 offset:7424                      // 0000000036C4: D8EC1D00 5E00000C
	v_add_f32_e32 v112, v112, v104                             // 0000000036CC: 02E0D170
	v_add_f32_e32 v113, v113, v105                             // 0000000036D0: 02E2D371
	v_add_f32_e32 v114, v114, v106                             // 0000000036D4: 02E4D572
	v_add_f32_e32 v115, v115, v107                             // 0000000036D8: 02E6D773
	s_waitcnt lgkmcnt(3)                                       // 0000000036DC: BF8CC37F
	v_mov_b32_dpp v96, v88 row_shl:8 row_mask:0xf bank_mask:0xf bound_ctrl:1// 0000000036E0: 7EC002FA FF090858
	v_and_b32_e32 v88, v88, v9                                 // 0000000036E8: 26B01358
	v_mov_b32_dpp v97, v89 row_shl:8 row_mask:0xf bank_mask:0xf bound_ctrl:1// 0000000036EC: 7EC202FA FF090859
	v_and_b32_e32 v89, v89, v9                                 // 0000000036F4: 26B21359
	s_waitcnt lgkmcnt(2)                                       // 0000000036F8: BF8CC27F
	v_mov_b32_dpp v98, v90 row_shl:8 row_mask:0xf bank_mask:0xf bound_ctrl:1// 0000000036FC: 7EC402FA FF09085A
	v_and_b32_e32 v90, v90, v9                                 // 000000003704: 26B4135A
	v_mov_b32_dpp v99, v91 row_shl:8 row_mask:0xf bank_mask:0xf bound_ctrl:1// 000000003708: 7EC602FA FF09085B
	v_and_b32_e32 v91, v91, v9                                 // 000000003710: 26B6135B
	s_waitcnt lgkmcnt(1)                                       // 000000003714: BF8CC17F
	v_mov_b32_dpp v100, v92 row_shl:8 row_mask:0xf bank_mask:0xf bound_ctrl:1// 000000003718: 7EC802FA FF09085C
	v_and_b32_e32 v92, v92, v9                                 // 000000003720: 26B8135C
	v_mov_b32_dpp v101, v93 row_shl:8 row_mask:0xf bank_mask:0xf bound_ctrl:1// 000000003724: 7ECA02FA FF09085D
	v_and_b32_e32 v93, v93, v9                                 // 00000000372C: 26BA135D
	s_waitcnt lgkmcnt(0)                                       // 000000003730: BF8CC07F
	v_mov_b32_dpp v102, v94 row_shl:8 row_mask:0xf bank_mask:0xf bound_ctrl:1// 000000003734: 7ECC02FA FF09085E
	v_and_b32_e32 v94, v94, v9                                 // 00000000373C: 26BC135E
	v_mov_b32_dpp v103, v95 row_shl:8 row_mask:0xf bank_mask:0xf bound_ctrl:1// 000000003740: 7ECE02FA FF09085F
	v_and_b32_e32 v95, v95, v9                                 // 000000003748: 26BE135F
	s_waitcnt vmcnt(15)                                        // 00000000374C: BF8C0F7F
	v_mfma_i32_16x16x32_i8 v[104:107], a[64:65], v[88:89], 0   // 000000003750: D3D70068 0A02B140
	buffer_load_dwordx4 a[112:115], v34, s[20:23], 0 offen offset:1024// 000000003758: E05C1400 80857022
	v_mfma_i32_16x16x32_i8 v[104:107], a[66:67], v[90:91], v[104:107]// 000000003760: D3D70068 0DA2B542
	v_mfma_i32_16x16x32_i8 v[104:107], a[68:69], v[92:93], v[104:107]// 000000003768: D3D70068 0DA2B944
	v_mfma_i32_16x16x32_i8 v[104:107], a[70:71], v[94:95], v[104:107]// 000000003770: D3D70068 0DA2BD46
	v_mfma_i32_16x16x32_i8 v[104:107], a[72:73], v[96:97], v[104:107]// 000000003778: D3D70068 0DA2C148
	buffer_load_dwordx4 a[116:119], v35, s[20:23], 0 offen offset:1024// 000000003780: E05C1400 80857423
	v_mfma_i32_16x16x32_i8 v[104:107], a[74:75], v[98:99], v[104:107]// 000000003788: D3D70068 0DA2C54A
	v_mfma_i32_16x16x32_i8 v[104:107], a[76:77], v[100:101], v[104:107]// 000000003790: D3D70068 0DA2C94C
	v_mfma_i32_16x16x32_i8 v[104:107], a[78:79], v[102:103], v[104:107]// 000000003798: D3D70068 0DA2CD4E
	v_mfma_i32_16x16x32_i8 v[108:111], a[80:81], v[88:89], 0   // 0000000037A0: D3D7006C 0A02B150
	buffer_load_dwordx4 a[120:123], v36, s[20:23], 0 offen offset:1024// 0000000037A8: E05C1400 80857824
	v_mfma_i32_16x16x32_i8 v[108:111], a[82:83], v[90:91], v[108:111]// 0000000037B0: D3D7006C 0DB2B552
	v_mfma_i32_16x16x32_i8 v[108:111], a[84:85], v[92:93], v[108:111]// 0000000037B8: D3D7006C 0DB2B954
	v_mfma_i32_16x16x32_i8 v[108:111], a[86:87], v[94:95], v[108:111]// 0000000037C0: D3D7006C 0DB2BD56
	v_mfma_i32_16x16x32_i8 v[108:111], a[88:89], v[96:97], v[108:111]// 0000000037C8: D3D7006C 0DB2C158
	buffer_load_dwordx4 a[124:127], v37, s[20:23], 0 offen offset:1024// 0000000037D0: E05C1400 80857C25
	v_mfma_i32_16x16x32_i8 v[108:111], a[90:91], v[98:99], v[108:111]// 0000000037D8: D3D7006C 0DB2C55A
	v_mfma_i32_16x16x32_i8 v[108:111], a[92:93], v[100:101], v[108:111]// 0000000037E0: D3D7006C 0DB2C95C
	s_lshr_b32 s57, s70, 4                                     // 0000000037E8: 8F398446
	s_add_u32 s57, 48, s57                                     // 0000000037EC: 803939B0
	v_mfma_i32_16x16x32_i8 v[108:111], a[94:95], v[102:103], v[108:111]// 0000000037F0: D3D7006C 0DB2CD5E
	s_cmp_ge_u32 s57, s73                                      // 0000000037F8: BF094939
	s_cselect_b32 s56, 0, s56                                  // 0000000037FC: 85383880
	v_add_u32_e32 v1, s56, v1                                  // 000000003800: 68020238
	s_addk_i32 s70, 0x100                                      // 000000003804: B7460100
	s_cmp_lt_i32 s70, s71                                      // 000000003808: BF044746
	s_cbranch_scc0 label_05CF                                  // 00000000380C: BF84FE0B
	s_waitcnt vmcnt(8) lgkmcnt(0)                              // 000000003810: BF8C0078
	v_mul_u32_u24_dpp v38, v16, v51 row_newbcast:0 row_mask:0xf bank_mask:0xf// 000000003814: 104C66FA FF015010
	v_mul_u32_u24_dpp v39, v16, v51 row_newbcast:4 row_mask:0xf bank_mask:0xf// 00000000381C: 104E66FA FF015410
	v_mul_u32_u24_dpp v40, v16, v51 row_newbcast:8 row_mask:0xf bank_mask:0xf// 000000003824: 105066FA FF015810
	v_mul_u32_u24_dpp v41, v16, v51 row_newbcast:12 row_mask:0xf bank_mask:0xf// 00000000382C: 105266FA FF015C10
	v_add_u32_e32 v22, v38, v6                                 // 000000003834: 682C0D26
	v_add_u32_e32 v23, v39, v6                                 // 000000003838: 682E0D27
	v_add_u32_e32 v24, v40, v6                                 // 00000000383C: 68300D28
	v_add_u32_e32 v25, v41, v6                                 // 000000003840: 68320D29
	v_mul_u32_u24_dpp v38, v16, v61 quad_perm:[0,0,0,0] row_mask:0xf bank_mask:0xf// 000000003844: 104C7AFA FF000010
	v_add_u32_e32 v2, v38, v57                                 // 00000000384C: 68047326
	v_mul_u32_u24_dpp v38, v16, v61 quad_perm:[0,0,0,0] row_mask:0xf bank_mask:0xf// 000000003850: 104C7AFA FF000010
	v_add_u32_e32 v53, v38, v58                                // 000000003858: 686A7526
	v_mfma_i32_16x16x32_i8 v[88:91], a[32:33], v[80:81], 0     // 00000000385C: D3D70058 0A02A120
	buffer_load_dwordx4 a[0:3], v22, s[16:19], 0 offen         // 000000003864: E05C1000 80840016
	v_mfma_i32_16x16x32_i8 v[88:91], a[34:35], v[82:83], v[88:91]// 00000000386C: D3D70058 0D62A522
	v_mfma_i32_16x16x32_i8 v[88:91], a[36:37], v[84:85], v[88:91]// 000000003874: D3D70058 0D62A924
	buffer_load_dword v17, v1, s[24:27], 0 offen               // 00000000387C: E0501000 80061101
	v_mfma_i32_16x16x32_i8 v[88:91], a[38:39], v[86:87], v[88:91]// 000000003884: D3D70058 0D62AD26
	v_mfma_i32_16x16x32_i8 v[92:95], a[40:41], v[80:81], 0     // 00000000388C: D3D7005C 0A02A128
	buffer_load_dwordx4 a[4:7], v22, s[16:19], 0 offen offset:1024// 000000003894: E05C1400 80840416
	v_mfma_i32_16x16x32_i8 v[92:95], a[42:43], v[82:83], v[92:95]// 00000000389C: D3D7005C 0D72A52A
	v_mfma_i32_16x16x32_i8 v[92:95], a[44:45], v[84:85], v[92:95]// 0000000038A4: D3D7005C 0D72A92C
	v_mfma_i32_16x16x32_i8 v[92:95], a[46:47], v[86:87], v[92:95]// 0000000038AC: D3D7005C 0D72AD2E
	v_mfma_i32_16x16x32_i8 v[96:99], a[48:49], v[80:81], 0     // 0000000038B4: D3D70060 0A02A130
	buffer_load_dwordx4 a[8:11], v23, s[16:19], 0 offen        // 0000000038BC: E05C1000 80840817
	v_mfma_i32_16x16x32_i8 v[96:99], a[50:51], v[82:83], v[96:99]// 0000000038C4: D3D70060 0D82A532
	v_mfma_i32_16x16x32_i8 v[96:99], a[52:53], v[84:85], v[96:99]// 0000000038CC: D3D70060 0D82A934
	v_mfma_i32_16x16x32_i8 v[96:99], a[54:55], v[86:87], v[96:99]// 0000000038D4: D3D70060 0D82AD36
	v_mfma_i32_16x16x32_i8 v[100:103], a[56:57], v[80:81], 0   // 0000000038DC: D3D70064 0A02A138
	buffer_load_dwordx4 a[12:15], v23, s[16:19], 0 offen offset:1024// 0000000038E4: E05C1400 80840C17
	v_mfma_i32_16x16x32_i8 v[100:103], a[58:59], v[82:83], v[100:103]// 0000000038EC: D3D70064 0D92A53A
	v_mfma_i32_16x16x32_i8 v[100:103], a[60:61], v[84:85], v[100:103]// 0000000038F4: D3D70064 0D92A93C
	v_mfma_i32_16x16x32_i8 v[100:103], a[62:63], v[86:87], v[100:103]// 0000000038FC: D3D70064 0D92AD3E
	buffer_load_dword v44, v2, s[32:35], 0 offen               // 000000003904: E0501000 80082C02
	v_mov_b32_dpp v38, v45 row_shr:4 row_mask:0xf bank_mask:0xf// 00000000390C: 7E4C02FA FF01142D
	v_mov_b32_dpp v39, v45 row_shl:4 row_mask:0xf bank_mask:0xf// 000000003914: 7E4E02FA FF01042D
	v_cndmask_b32_e64 v124, v45, v38, s[44:45]                 // 00000000391C: D100007C 00B24D2D
	v_cndmask_b32_e64 v125, v39, v45, s[44:45]                 // 000000003924: D100007D 00B25B27
	v_mov_b32_dpp v38, v56 row_shr:4 row_mask:0xf bank_mask:0xf// 00000000392C: 7E4C02FA FF011438
	v_mov_b32_dpp v39, v56 row_shl:4 row_mask:0xf bank_mask:0xf// 000000003934: 7E4E02FA FF010438
	v_cndmask_b32_e64 v126, v56, v38, s[44:45]                 // 00000000393C: D100007E 00B24D38
	v_cndmask_b32_e64 v127, v39, v56, s[44:45]                 // 000000003944: D100007F 00B27127
	v_or_b32_dpp v88, v96, v88 row_shr:8 row_mask:0xf bank_mask:0xf bound_ctrl:1// 00000000394C: 28B0B0FA FF091860
	v_or_b32_dpp v89, v97, v89 row_shr:8 row_mask:0xf bank_mask:0xf bound_ctrl:1// 000000003954: 28B2B2FA FF091861
	v_or_b32_dpp v90, v98, v90 row_shr:8 row_mask:0xf bank_mask:0xf bound_ctrl:1// 00000000395C: 28B4B4FA FF091862
	v_or_b32_dpp v91, v99, v91 row_shr:8 row_mask:0xf bank_mask:0xf bound_ctrl:1// 000000003964: 28B6B6FA FF091863
	v_or_b32_dpp v92, v100, v92 row_shr:8 row_mask:0xf bank_mask:0xf bound_ctrl:1// 00000000396C: 28B8B8FA FF091864
	v_or_b32_dpp v93, v101, v93 row_shr:8 row_mask:0xf bank_mask:0xf bound_ctrl:1// 000000003974: 28BABAFA FF091865
	v_or_b32_dpp v94, v102, v94 row_shr:8 row_mask:0xf bank_mask:0xf bound_ctrl:1// 00000000397C: 28BCBCFA FF091866
	v_or_b32_dpp v95, v103, v95 row_shr:8 row_mask:0xf bank_mask:0xf bound_ctrl:1// 000000003984: 28BEBEFA FF091867
	buffer_load_dword v55, v53, s[36:39], 0 offen              // 00000000398C: E0501000 80093735
	v_cvt_f32_i32_e32 v88, v88                                 // 000000003994: 7EB00B58
	v_cvt_f32_i32_e32 v89, v89                                 // 000000003998: 7EB20B59
	v_cvt_f32_i32_e32 v90, v90                                 // 00000000399C: 7EB40B5A
	v_cvt_f32_i32_e32 v91, v91                                 // 0000000039A0: 7EB60B5B
	v_cvt_f32_i32_e32 v92, v92                                 // 0000000039A4: 7EB80B5C
	v_cvt_f32_i32_e32 v93, v93                                 // 0000000039A8: 7EBA0B5D
	v_cvt_f32_i32_e32 v94, v94                                 // 0000000039AC: 7EBC0B5E
	v_cvt_f32_i32_e32 v95, v95                                 // 0000000039B0: 7EBE0B5F
	v_mul_f32_e32 v88, v46, v88                                // 0000000039B4: 0AB0B12E
	v_mul_f32_e32 v89, v46, v89                                // 0000000039B8: 0AB2B32E
	v_mul_f32_e32 v90, v46, v90                                // 0000000039BC: 0AB4B52E
	v_mul_f32_e32 v91, v46, v91                                // 0000000039C0: 0AB6B72E
	v_mul_f32_e32 v92, v46, v92                                // 0000000039C4: 0AB8B92E
	v_mul_f32_e32 v93, v46, v93                                // 0000000039C8: 0ABABB2E
	v_mul_f32_e32 v94, v46, v94                                // 0000000039CC: 0ABCBD2E
	v_mul_f32_e32 v95, v46, v95                                // 0000000039D0: 0ABEBF2E
	buffer_load_dwordx4 a[16:19], v24, s[16:19], 0 offen       // 0000000039D4: E05C1000 80841018
	v_mul_f32_dpp v88, v124, v88 quad_perm:[0,0,0,0] row_mask:0xf bank_mask:0xf// 0000000039DC: 0AB0B0FA FF00007C
	v_mul_f32_dpp v89, v124, v89 quad_perm:[1,1,1,1] row_mask:0xf bank_mask:0xf// 0000000039E4: 0AB2B2FA FF00557C
	v_mul_f32_dpp v90, v124, v90 quad_perm:[2,2,2,2] row_mask:0xf bank_mask:0xf// 0000000039EC: 0AB4B4FA FF00AA7C
	v_mul_f32_dpp v91, v124, v91 quad_perm:[3,3,3,3] row_mask:0xf bank_mask:0xf// 0000000039F4: 0AB6B6FA FF00FF7C
	v_mul_f32_dpp v92, v125, v92 quad_perm:[0,0,0,0] row_mask:0xf bank_mask:0xf// 0000000039FC: 0AB8B8FA FF00007D
	v_mul_f32_dpp v93, v125, v93 quad_perm:[1,1,1,1] row_mask:0xf bank_mask:0xf// 000000003A04: 0ABABAFA FF00557D
	v_mul_f32_dpp v94, v125, v94 quad_perm:[2,2,2,2] row_mask:0xf bank_mask:0xf// 000000003A0C: 0ABCBCFA FF00AA7D
	v_mul_f32_dpp v95, v125, v95 quad_perm:[3,3,3,3] row_mask:0xf bank_mask:0xf// 000000003A14: 0ABEBEFA FF00FF7D
	buffer_load_dwordx4 a[20:23], v24, s[16:19], 0 offen offset:1024// 000000003A1C: E05C1400 80841418
	v_mov_b32_e32 v48, v88                                     // 000000003A24: 7E600358
	v_max3_f32 v48, v88, v89, v48                              // 000000003A28: D1D30030 04C2B358
	v_max3_f32 v48, v90, v91, v48                              // 000000003A30: D1D30030 04C2B75A
	v_max3_f32 v48, v92, v93, v48                              // 000000003A38: D1D30030 04C2BB5C
	v_max3_f32 v48, v94, v95, v48                              // 000000003A40: D1D30030 04C2BF5E
	ds_write_b32 v11, v48 offset:4224                          // 000000003A48: D81A1080 0000300B
	buffer_load_dwordx4 a[24:27], v25, s[16:19], 0 offen       // 000000003A50: E05C1000 80841819
	v_mul_u32_u24_dpp v38, v16, v51 row_newbcast:1 row_mask:0xf bank_mask:0xf// 000000003A58: 104C66FA FF015110
	v_mul_u32_u24_dpp v39, v16, v51 row_newbcast:5 row_mask:0xf bank_mask:0xf// 000000003A60: 104E66FA FF015510
	v_mul_u32_u24_dpp v40, v16, v51 row_newbcast:9 row_mask:0xf bank_mask:0xf// 000000003A68: 105066FA FF015910
	v_mul_u32_u24_dpp v41, v16, v51 row_newbcast:13 row_mask:0xf bank_mask:0xf// 000000003A70: 105266FA FF015D10
	v_add_u32_e32 v30, v38, v7                                 // 000000003A78: 683C0F26
	v_add_u32_e32 v31, v39, v7                                 // 000000003A7C: 683E0F27
	v_add_u32_e32 v32, v40, v7                                 // 000000003A80: 68400F28
	v_add_u32_e32 v33, v41, v7                                 // 000000003A84: 68420F29
	s_waitcnt lgkmcnt(0)                                       // 000000003A88: BF8CC07F
	s_barrier                                                  // 000000003A8C: BF8A0000
	ds_read_b32 v64, v10 offset:4224                           // 000000003A90: D86C1080 4000000A
	ds_read_b32 v65, v10 offset:4288                           // 000000003A98: D86C10C0 4100000A
	ds_read_b32 v66, v10 offset:4352                           // 000000003AA0: D86C1100 4200000A
	ds_read_b32 v67, v10 offset:4416                           // 000000003AA8: D86C1140 4300000A
	ds_read_b32 v68, v10 offset:4480                           // 000000003AB0: D86C1180 4400000A
	ds_read_b32 v69, v10 offset:4544                           // 000000003AB8: D86C11C0 4500000A
	ds_read_b32 v70, v10 offset:4608                           // 000000003AC0: D86C1200 4600000A
	ds_read_b32 v71, v10 offset:4672                           // 000000003AC8: D86C1240 4700000A
	ds_read_b32 v72, v10 offset:4736                           // 000000003AD0: D86C1280 4800000A
	ds_read_b32 v73, v10 offset:4800                           // 000000003AD8: D86C12C0 4900000A
	ds_read_b32 v74, v10 offset:4864                           // 000000003AE0: D86C1300 4A00000A
	ds_read_b32 v75, v10 offset:4928                           // 000000003AE8: D86C1340 4B00000A
	ds_read_b32 v76, v10 offset:4992                           // 000000003AF0: D86C1380 4C00000A
	ds_read_b32 v77, v10 offset:5056                           // 000000003AF8: D86C13C0 4D00000A
	ds_read_b32 v78, v10 offset:5120                           // 000000003B00: D86C1400 4E00000A
	ds_read_b32 v79, v10 offset:5184                           // 000000003B08: D86C1440 4F00000A
	buffer_load_dwordx4 a[28:31], v25, s[16:19], 0 offen offset:1024// 000000003B10: E05C1400 80841C19
	v_mul_f32_e32 v112, v49, v112                              // 000000003B18: 0AE0E131
	v_mul_f32_e32 v113, v49, v113                              // 000000003B1C: 0AE2E331
	v_mul_f32_e32 v114, v49, v114                              // 000000003B20: 0AE4E531
	v_mul_f32_e32 v115, v49, v115                              // 000000003B24: 0AE6E731
	v_or_b32_dpp v104, v108, v104 row_shr:8 row_mask:0xf bank_mask:0xf bound_ctrl:1// 000000003B28: 28D0D0FA FF09186C
	v_or_b32_dpp v105, v109, v105 row_shr:8 row_mask:0xf bank_mask:0xf bound_ctrl:1// 000000003B30: 28D2D2FA FF09186D
	v_or_b32_dpp v106, v110, v106 row_shr:8 row_mask:0xf bank_mask:0xf bound_ctrl:1// 000000003B38: 28D4D4FA FF09186E
	v_or_b32_dpp v107, v111, v107 row_shr:8 row_mask:0xf bank_mask:0xf bound_ctrl:1// 000000003B40: 28D6D6FA FF09186F
	s_waitcnt lgkmcnt(0)                                       // 000000003B48: BF8CC07F
	v_max3_f32 v48, v64, v65, v48                              // 000000003B4C: D1D30030 04C28340
	v_max3_f32 v48, v66, v67, v48                              // 000000003B54: D1D30030 04C28742
	v_max3_f32 v48, v68, v69, v48                              // 000000003B5C: D1D30030 04C28B44
	v_max3_f32 v48, v70, v71, v48                              // 000000003B64: D1D30030 04C28F46
	v_max3_f32 v48, v72, v73, v48                              // 000000003B6C: D1D30030 04C29348
	v_max3_f32 v48, v74, v75, v48                              // 000000003B74: D1D30030 04C2974A
	v_max3_f32 v48, v76, v77, v48                              // 000000003B7C: D1D30030 04C29B4C
	v_max3_f32 v48, v78, v79, v48                              // 000000003B84: D1D30030 04C29F4E
	buffer_load_dwordx4 a[64:67], v30, s[20:23], 0 offen       // 000000003B8C: E05C1000 8085401E
	v_cmp_eq_u32_e64 s[40:41], v52, v14                        // 000000003B94: D0CA0028 00021D34
	s_nop 1                                                    // 000000003B9C: BF800001
	v_mov_b32_dpp v38, v48 row_ror:8 row_mask:0xf bank_mask:0xf// 000000003BA0: 7E4C02FA FF012830
	v_max_f32_e32 v48, v48, v38                                // 000000003BA8: 16604D30
	v_max_f32_e32 v15, v48, v14                                // 000000003BAC: 161E1D30
	v_mul_f32_e32 v50, s64, v15                                // 000000003BB0: 0A641E40
	v_fma_f32 v88, v88, s64, -v50                              // 000000003BB4: D1CB0058 84C88158
	v_fma_f32 v89, v89, s64, -v50                              // 000000003BBC: D1CB0059 84C88159
	v_fma_f32 v90, v90, s64, -v50                              // 000000003BC4: D1CB005A 84C8815A
	v_fma_f32 v91, v91, s64, -v50                              // 000000003BCC: D1CB005B 84C8815B
	v_fma_f32 v92, v92, s64, -v50                              // 000000003BD4: D1CB005C 84C8815C
	v_fma_f32 v93, v93, s64, -v50                              // 000000003BDC: D1CB005D 84C8815D
	v_fma_f32 v94, v94, s64, -v50                              // 000000003BE4: D1CB005E 84C8815E
	v_fma_f32 v95, v95, s64, -v50                              // 000000003BEC: D1CB005F 84C8815F
	buffer_load_dwordx4 a[68:71], v31, s[20:23], 0 offen       // 000000003BF4: E05C1000 8085441F
	v_exp_f32_e32 v88, v88                                     // 000000003BFC: 7EB04158
	v_exp_f32_e32 v89, v89                                     // 000000003C00: 7EB24159
	v_exp_f32_e32 v90, v90                                     // 000000003C04: 7EB4415A
	v_exp_f32_e32 v91, v91                                     // 000000003C08: 7EB6415B
	v_exp_f32_e32 v92, v92                                     // 000000003C0C: 7EB8415C
	v_exp_f32_e32 v93, v93                                     // 000000003C10: 7EBA415D
	v_exp_f32_e32 v94, v94                                     // 000000003C14: 7EBC415E
	v_exp_f32_e32 v95, v95                                     // 000000003C18: 7EBE415F
	buffer_load_dwordx4 a[72:75], v32, s[20:23], 0 offen       // 000000003C1C: E05C1000 80854820
	v_mul_f32_dpp v128, v126, v88 quad_perm:[0,0,0,0] row_mask:0xf bank_mask:0xf// 000000003C24: 0B00B0FA FF00007E
	v_mul_f32_dpp v129, v126, v89 quad_perm:[1,1,1,1] row_mask:0xf bank_mask:0xf// 000000003C2C: 0B02B2FA FF00557E
	v_mul_f32_dpp v130, v126, v90 quad_perm:[2,2,2,2] row_mask:0xf bank_mask:0xf// 000000003C34: 0B04B4FA FF00AA7E
	v_mul_f32_dpp v131, v126, v91 quad_perm:[3,3,3,3] row_mask:0xf bank_mask:0xf// 000000003C3C: 0B06B6FA FF00FF7E
	v_mul_f32_dpp v132, v127, v92 quad_perm:[0,0,0,0] row_mask:0xf bank_mask:0xf// 000000003C44: 0B08B8FA FF00007F
	v_mul_f32_dpp v133, v127, v93 quad_perm:[1,1,1,1] row_mask:0xf bank_mask:0xf// 000000003C4C: 0B0ABAFA FF00557F
	v_mul_f32_dpp v134, v127, v94 quad_perm:[2,2,2,2] row_mask:0xf bank_mask:0xf// 000000003C54: 0B0CBCFA FF00AA7F
	v_mul_f32_dpp v135, v127, v95 quad_perm:[3,3,3,3] row_mask:0xf bank_mask:0xf// 000000003C5C: 0B0EBEFA FF00FF7F
	v_mov_b32_e32 v48, 0x358637bd                              // 000000003C64: 7E6002FF 358637BD
	v_max3_f32 v48, |v128|, |v129|, v48                        // 000000003C6C: D1D30330 04C30380
	v_max3_f32 v48, |v130|, |v131|, v48                        // 000000003C74: D1D30330 04C30782
	v_max3_f32 v48, |v132|, |v133|, v48                        // 000000003C7C: D1D30330 04C30B84
	v_max3_f32 v48, |v134|, |v135|, v48                        // 000000003C84: D1D30330 04C30F86
	buffer_load_dwordx4 a[76:79], v33, s[20:23], 0 offen       // 000000003C8C: E05C1000 80854C21
	ds_write_b32 v11, v48 offset:5248                          // 000000003C94: D81A1480 0000300B
	v_sub_f32_e32 v49, v14, v15                                // 000000003C9C: 04621F0E
	v_cndmask_b32_e64 v49, v49, 0, s[40:41]                    // 000000003CA0: D1000031 00A10131
	v_mov_b32_e32 v14, v15                                     // 000000003CA8: 7E1C030F
	v_mul_f32_e32 v49, s64, v49                                // 000000003CAC: 0A626240
	v_exp_f32_e32 v49, v49                                     // 000000003CB0: 7E624131
	s_waitcnt lgkmcnt(0)                                       // 000000003CB4: BF8CC07F
	s_barrier                                                  // 000000003CB8: BF8A0000
	ds_read_b32 v64, v10 offset:5248                           // 000000003CBC: D86C1480 4000000A
	ds_read_b32 v65, v10 offset:5312                           // 000000003CC4: D86C14C0 4100000A
	ds_read_b32 v66, v10 offset:5376                           // 000000003CCC: D86C1500 4200000A
	ds_read_b32 v67, v10 offset:5440                           // 000000003CD4: D86C1540 4300000A
	ds_read_b32 v68, v10 offset:5504                           // 000000003CDC: D86C1580 4400000A
	ds_read_b32 v69, v10 offset:5568                           // 000000003CE4: D86C15C0 4500000A
	ds_read_b32 v70, v10 offset:5632                           // 000000003CEC: D86C1600 4600000A
	ds_read_b32 v71, v10 offset:5696                           // 000000003CF4: D86C1640 4700000A
	ds_read_b32 v72, v10 offset:5760                           // 000000003CFC: D86C1680 4800000A
	ds_read_b32 v73, v10 offset:5824                           // 000000003D04: D86C16C0 4900000A
	ds_read_b32 v74, v10 offset:5888                           // 000000003D0C: D86C1700 4A00000A
	ds_read_b32 v75, v10 offset:5952                           // 000000003D14: D86C1740 4B00000A
	ds_read_b32 v76, v10 offset:6016                           // 000000003D1C: D86C1780 4C00000A
	ds_read_b32 v77, v10 offset:6080                           // 000000003D24: D86C17C0 4D00000A
	ds_read_b32 v78, v10 offset:6144                           // 000000003D2C: D86C1800 4E00000A
	ds_read_b32 v79, v10 offset:6208                           // 000000003D34: D86C1840 4F00000A
	v_mul_f32_e32 v42, v49, v42                                // 000000003D3C: 0A545531
	v_mov_b32_e32 v43, v88                                     // 000000003D40: 7E560358
	v_add_f32_e32 v43, v89, v43                                // 000000003D44: 02565759
	v_add_f32_e32 v43, v90, v43                                // 000000003D48: 0256575A
	v_add_f32_e32 v43, v91, v43                                // 000000003D4C: 0256575B
	v_add_f32_e32 v43, v92, v43                                // 000000003D50: 0256575C
	v_add_f32_e32 v43, v93, v43                                // 000000003D54: 0256575D
	v_add_f32_e32 v43, v94, v43                                // 000000003D58: 0256575E
	v_add_f32_e32 v43, v95, v43                                // 000000003D5C: 0256575F
	v_add_f32_e32 v42, v43, v42                                // 000000003D60: 0254552B
	s_waitcnt lgkmcnt(0)                                       // 000000003D64: BF8CC07F
	v_max3_f32 v48, |v64|, |v65|, v48                          // 000000003D68: D1D30330 04C28340
	v_max3_f32 v48, |v66|, |v67|, v48                          // 000000003D70: D1D30330 04C28742
	v_max3_f32 v48, |v68|, |v69|, v48                          // 000000003D78: D1D30330 04C28B44
	v_max3_f32 v48, |v70|, |v71|, v48                          // 000000003D80: D1D30330 04C28F46
	v_max3_f32 v48, |v72|, |v73|, v48                          // 000000003D88: D1D30330 04C29348
	v_max3_f32 v48, |v74|, |v75|, v48                          // 000000003D90: D1D30330 04C2974A
	v_max3_f32 v48, |v76|, |v77|, v48                          // 000000003D98: D1D30330 04C29B4C
	v_max3_f32 v48, |v78|, |v79|, v48                          // 000000003DA0: D1D30330 04C29F4E
	s_nop 2                                                    // 000000003DA8: BF800002
	v_mov_b32_dpp v38, v48 row_ror:8 row_mask:0xf bank_mask:0xf// 000000003DAC: 7E4C02FA FF012830
	v_max_f32_e32 v48, v48, v38                                // 000000003DB4: 16604D30
	v_rcp_f32_e32 v48, v48                                     // 000000003DB8: 7E604530
	s_nop 1                                                    // 000000003DBC: BF800001
	v_mul_f32_e32 v48, 0x42fe0000, v48                         // 000000003DC0: 0A6060FF 42FE0000
	v_mul_f32_e32 v88, v48, v128                               // 000000003DC8: 0AB10130
	v_mul_f32_e32 v89, v48, v129                               // 000000003DCC: 0AB30330
	v_mul_f32_e32 v90, v48, v130                               // 000000003DD0: 0AB50530
	v_mul_f32_e32 v91, v48, v131                               // 000000003DD4: 0AB70730
	v_mul_f32_e32 v92, v48, v132                               // 000000003DD8: 0AB90930
	v_mul_f32_e32 v93, v48, v133                               // 000000003DDC: 0ABB0B30
	v_mul_f32_e32 v94, v48, v134                               // 000000003DE0: 0ABD0D30
	v_mul_f32_e32 v95, v48, v135                               // 000000003DE4: 0ABF0F30
	v_cvt_i32_f32_e32 v88, v88                                 // 000000003DE8: 7EB01158
	v_cvt_i32_f32_e32 v89, v89                                 // 000000003DEC: 7EB21159
	v_cvt_i32_f32_e32 v90, v90                                 // 000000003DF0: 7EB4115A
	v_cvt_i32_f32_e32 v91, v91                                 // 000000003DF4: 7EB6115B
	v_cvt_i32_f32_e32 v92, v92                                 // 000000003DF8: 7EB8115C
	v_cvt_i32_f32_e32 v93, v93                                 // 000000003DFC: 7EBA115D
	v_cvt_i32_f32_e32 v94, v94                                 // 000000003E00: 7EBC115E
	v_cvt_i32_f32_e32 v95, v95                                 // 000000003E04: 7EBE115F
	v_perm_b32 v88, v89, v88, s53                              // 000000003E08: D1ED0058 00D6B159
	v_perm_b32 v88, v90, v88, s54                              // 000000003E10: D1ED0058 00DAB15A
	v_perm_b32 v88, v91, v88, s55                              // 000000003E18: D1ED0058 00DEB15B
	v_perm_b32 v89, v93, v92, s53                              // 000000003E20: D1ED0059 00D6B95D
	v_perm_b32 v89, v94, v89, s54                              // 000000003E28: D1ED0059 00DAB35E
	v_perm_b32 v89, v95, v89, s55                              // 000000003E30: D1ED0059 00DEB35F
	ds_write_b32 v13, v88 offset:6272                          // 000000003E38: D81A1880 0000580D
	ds_write_b32 v13, v89 offset:7296                          // 000000003E40: D81A1C80 0000590D
	v_cvt_f32_i32_e32 v104, v104                               // 000000003E48: 7ED00B68
	v_cvt_f32_i32_e32 v105, v105                               // 000000003E4C: 7ED20B69
	v_cvt_f32_i32_e32 v106, v106                               // 000000003E50: 7ED40B6A
	v_cvt_f32_i32_e32 v107, v107                               // 000000003E54: 7ED60B6B
	v_mul_f32_e32 v104, v47, v104                              // 000000003E58: 0AD0D12F
	v_mul_f32_e32 v105, v47, v105                              // 000000003E5C: 0AD2D32F
	v_mul_f32_e32 v106, v47, v106                              // 000000003E60: 0AD4D52F
	v_mul_f32_e32 v107, v47, v107                              // 000000003E64: 0AD6D72F
	v_rcp_f32_e32 v47, v48                                     // 000000003E68: 7E5E4530
	s_waitcnt lgkmcnt(0)                                       // 000000003E6C: BF8CC07F
	s_barrier                                                  // 000000003E70: BF8A0000
	ds_read_b64 v[88:89], v12 offset:6272                      // 000000003E74: D8EC1880 5800000C
	ds_read_b64 v[90:91], v12 offset:6400                      // 000000003E7C: D8EC1900 5A00000C
	ds_read_b64 v[92:93], v12 offset:7296                      // 000000003E84: D8EC1C80 5C00000C
	ds_read_b64 v[94:95], v12 offset:7424                      // 000000003E8C: D8EC1D00 5E00000C
	v_add_f32_e32 v112, v112, v104                             // 000000003E94: 02E0D170
	v_add_f32_e32 v113, v113, v105                             // 000000003E98: 02E2D371
	v_add_f32_e32 v114, v114, v106                             // 000000003E9C: 02E4D572
	v_add_f32_e32 v115, v115, v107                             // 000000003EA0: 02E6D773
	s_waitcnt lgkmcnt(3)                                       // 000000003EA4: BF8CC37F
	v_mov_b32_dpp v96, v88 row_shl:8 row_mask:0xf bank_mask:0xf bound_ctrl:1// 000000003EA8: 7EC002FA FF090858
	v_and_b32_e32 v88, v88, v9                                 // 000000003EB0: 26B01358
	v_mov_b32_dpp v97, v89 row_shl:8 row_mask:0xf bank_mask:0xf bound_ctrl:1// 000000003EB4: 7EC202FA FF090859
	v_and_b32_e32 v89, v89, v9                                 // 000000003EBC: 26B21359
	s_waitcnt lgkmcnt(2)                                       // 000000003EC0: BF8CC27F
	v_mov_b32_dpp v98, v90 row_shl:8 row_mask:0xf bank_mask:0xf bound_ctrl:1// 000000003EC4: 7EC402FA FF09085A
	v_and_b32_e32 v90, v90, v9                                 // 000000003ECC: 26B4135A
	v_mov_b32_dpp v99, v91 row_shl:8 row_mask:0xf bank_mask:0xf bound_ctrl:1// 000000003ED0: 7EC602FA FF09085B
	v_and_b32_e32 v91, v91, v9                                 // 000000003ED8: 26B6135B
	s_waitcnt lgkmcnt(1)                                       // 000000003EDC: BF8CC17F
	v_mov_b32_dpp v100, v92 row_shl:8 row_mask:0xf bank_mask:0xf bound_ctrl:1// 000000003EE0: 7EC802FA FF09085C
	v_and_b32_e32 v92, v92, v9                                 // 000000003EE8: 26B8135C
	v_mov_b32_dpp v101, v93 row_shl:8 row_mask:0xf bank_mask:0xf bound_ctrl:1// 000000003EEC: 7ECA02FA FF09085D
	v_and_b32_e32 v93, v93, v9                                 // 000000003EF4: 26BA135D
	s_waitcnt lgkmcnt(0)                                       // 000000003EF8: BF8CC07F
	v_mov_b32_dpp v102, v94 row_shl:8 row_mask:0xf bank_mask:0xf bound_ctrl:1// 000000003EFC: 7ECC02FA FF09085E
	v_and_b32_e32 v94, v94, v9                                 // 000000003F04: 26BC135E
	v_mov_b32_dpp v103, v95 row_shl:8 row_mask:0xf bank_mask:0xf bound_ctrl:1// 000000003F08: 7ECE02FA FF09085F
	v_and_b32_e32 v95, v95, v9                                 // 000000003F10: 26BE135F
	s_waitcnt vmcnt(15)                                        // 000000003F14: BF8C0F7F
	v_mfma_i32_16x16x32_i8 v[104:107], a[96:97], v[88:89], 0   // 000000003F18: D3D70068 0A02B160
	buffer_load_dwordx4 a[80:83], v30, s[20:23], 0 offen offset:1024// 000000003F20: E05C1400 8085501E
	v_mfma_i32_16x16x32_i8 v[104:107], a[98:99], v[90:91], v[104:107]// 000000003F28: D3D70068 0DA2B562
	v_mfma_i32_16x16x32_i8 v[104:107], a[100:101], v[92:93], v[104:107]// 000000003F30: D3D70068 0DA2B964
	v_mfma_i32_16x16x32_i8 v[104:107], a[102:103], v[94:95], v[104:107]// 000000003F38: D3D70068 0DA2BD66
	v_mfma_i32_16x16x32_i8 v[104:107], a[104:105], v[96:97], v[104:107]// 000000003F40: D3D70068 0DA2C168
	buffer_load_dwordx4 a[84:87], v31, s[20:23], 0 offen offset:1024// 000000003F48: E05C1400 8085541F
	v_mfma_i32_16x16x32_i8 v[104:107], a[106:107], v[98:99], v[104:107]// 000000003F50: D3D70068 0DA2C56A
	v_mfma_i32_16x16x32_i8 v[104:107], a[108:109], v[100:101], v[104:107]// 000000003F58: D3D70068 0DA2C96C
	v_mfma_i32_16x16x32_i8 v[104:107], a[110:111], v[102:103], v[104:107]// 000000003F60: D3D70068 0DA2CD6E
	v_mfma_i32_16x16x32_i8 v[108:111], a[112:113], v[88:89], 0 // 000000003F68: D3D7006C 0A02B170
	buffer_load_dwordx4 a[88:91], v32, s[20:23], 0 offen offset:1024// 000000003F70: E05C1400 80855820
	v_mfma_i32_16x16x32_i8 v[108:111], a[114:115], v[90:91], v[108:111]// 000000003F78: D3D7006C 0DB2B572
	v_mfma_i32_16x16x32_i8 v[108:111], a[116:117], v[92:93], v[108:111]// 000000003F80: D3D7006C 0DB2B974
	v_mfma_i32_16x16x32_i8 v[108:111], a[118:119], v[94:95], v[108:111]// 000000003F88: D3D7006C 0DB2BD76
	v_mfma_i32_16x16x32_i8 v[108:111], a[120:121], v[96:97], v[108:111]// 000000003F90: D3D7006C 0DB2C178
	buffer_load_dwordx4 a[92:95], v33, s[20:23], 0 offen offset:1024// 000000003F98: E05C1400 80855C21
	v_mfma_i32_16x16x32_i8 v[108:111], a[122:123], v[98:99], v[108:111]// 000000003FA0: D3D7006C 0DB2C57A
	v_mfma_i32_16x16x32_i8 v[108:111], a[124:125], v[100:101], v[108:111]// 000000003FA8: D3D7006C 0DB2C97C
	s_lshr_b32 s57, s70, 4                                     // 000000003FB0: 8F398446
	s_add_u32 s57, 48, s57                                     // 000000003FB4: 803939B0
	v_mfma_i32_16x16x32_i8 v[108:111], a[126:127], v[102:103], v[108:111]// 000000003FB8: D3D7006C 0DB2CD7E
	s_cmp_ge_u32 s57, s73                                      // 000000003FC0: BF094939
	s_cselect_b32 s56, 0, s56                                  // 000000003FC4: 85383880
	v_add_u32_e32 v1, s56, v1                                  // 000000003FC8: 68020238
	s_addk_i32 s70, 0x100                                      // 000000003FCC: B7460100
	s_cmp_lt_i32 s70, s71                                      // 000000003FD0: BF044746
	s_cbranch_scc0 label_05CF                                  // 000000003FD4: BF84FC19
	s_branch label_05D2                                        // 000000003FD8: BF82FC1B

0000000000003fdc <label_09B7>:
	s_lshr_b32 s60, s71, 4                                     // 000000003FDC: 8F3C8447
	s_cmp_eq_i32 s60, s73                                      // 000000003FE0: BF00493C
	s_cbranch_scc1 label_0DA8                                  // 000000003FE4: BF8503EE
	s_lshr_b32 s60, s71, 8                                     // 000000003FE8: 8F3C8847
	s_and_b32 s60, s60, 1                                      // 000000003FEC: 863C813C
	s_cmp_eq_i32 s60, 1                                        // 000000003FF0: BF00813C
	s_cbranch_scc1 label_0BB3                                  // 000000003FF4: BF8501F5
	s_waitcnt vmcnt(8) lgkmcnt(0)                              // 000000003FF8: BF8C0078
	s_barrier                                                  // 000000003FFC: BF8A0000
	v_mfma_i32_16x16x32_i8 v[88:91], a[0:1], v[80:81], 0       // 000000004000: D3D70058 0A02A100
	v_mfma_i32_16x16x32_i8 v[88:91], a[2:3], v[82:83], v[88:91]// 000000004008: D3D70058 0D62A502
	v_mfma_i32_16x16x32_i8 v[88:91], a[4:5], v[84:85], v[88:91]// 000000004010: D3D70058 0D62A904
	v_mfma_i32_16x16x32_i8 v[88:91], a[6:7], v[86:87], v[88:91]// 000000004018: D3D70058 0D62AD06
	v_mfma_i32_16x16x32_i8 v[92:95], a[8:9], v[80:81], 0       // 000000004020: D3D7005C 0A02A108
	v_mfma_i32_16x16x32_i8 v[92:95], a[10:11], v[82:83], v[92:95]// 000000004028: D3D7005C 0D72A50A
	v_mfma_i32_16x16x32_i8 v[92:95], a[12:13], v[84:85], v[92:95]// 000000004030: D3D7005C 0D72A90C
	v_mfma_i32_16x16x32_i8 v[92:95], a[14:15], v[86:87], v[92:95]// 000000004038: D3D7005C 0D72AD0E
	v_mfma_i32_16x16x32_i8 v[96:99], a[16:17], v[80:81], 0     // 000000004040: D3D70060 0A02A110
	v_mfma_i32_16x16x32_i8 v[96:99], a[18:19], v[82:83], v[96:99]// 000000004048: D3D70060 0D82A512
	v_mfma_i32_16x16x32_i8 v[96:99], a[20:21], v[84:85], v[96:99]// 000000004050: D3D70060 0D82A914
	v_mfma_i32_16x16x32_i8 v[96:99], a[22:23], v[86:87], v[96:99]// 000000004058: D3D70060 0D82AD16
	v_mfma_i32_16x16x32_i8 v[100:103], a[24:25], v[80:81], 0   // 000000004060: D3D70064 0A02A118
	v_mfma_i32_16x16x32_i8 v[100:103], a[26:27], v[82:83], v[100:103]// 000000004068: D3D70064 0D92A51A
	v_mfma_i32_16x16x32_i8 v[100:103], a[28:29], v[84:85], v[100:103]// 000000004070: D3D70064 0D92A91C
	v_mfma_i32_16x16x32_i8 v[100:103], a[30:31], v[86:87], v[100:103]// 000000004078: D3D70064 0D92AD1E
	v_mov_b32_dpp v38, v44 row_shr:4 row_mask:0xf bank_mask:0xf// 000000004080: 7E4C02FA FF01142C
	v_mov_b32_dpp v39, v44 row_shl:4 row_mask:0xf bank_mask:0xf// 000000004088: 7E4E02FA FF01042C
	v_cndmask_b32_e64 v124, v44, v38, s[44:45]                 // 000000004090: D100007C 00B24D2C
	v_cndmask_b32_e64 v125, v39, v44, s[44:45]                 // 000000004098: D100007D 00B25927
	v_mov_b32_dpp v38, v55 row_shr:4 row_mask:0xf bank_mask:0xf// 0000000040A0: 7E4C02FA FF011437
	v_mov_b32_dpp v39, v55 row_shl:4 row_mask:0xf bank_mask:0xf// 0000000040A8: 7E4E02FA FF010437
	v_cndmask_b32_e64 v126, v55, v38, s[44:45]                 // 0000000040B0: D100007E 00B24D37
	v_cndmask_b32_e64 v127, v39, v55, s[44:45]                 // 0000000040B8: D100007F 00B26F27
	v_or_b32_dpp v88, v96, v88 row_shr:8 row_mask:0xf bank_mask:0xf bound_ctrl:1// 0000000040C0: 28B0B0FA FF091860
	v_or_b32_dpp v89, v97, v89 row_shr:8 row_mask:0xf bank_mask:0xf bound_ctrl:1// 0000000040C8: 28B2B2FA FF091861
	v_or_b32_dpp v90, v98, v90 row_shr:8 row_mask:0xf bank_mask:0xf bound_ctrl:1// 0000000040D0: 28B4B4FA FF091862
	v_or_b32_dpp v91, v99, v91 row_shr:8 row_mask:0xf bank_mask:0xf bound_ctrl:1// 0000000040D8: 28B6B6FA FF091863
	v_or_b32_dpp v92, v100, v92 row_shr:8 row_mask:0xf bank_mask:0xf bound_ctrl:1// 0000000040E0: 28B8B8FA FF091864
	v_or_b32_dpp v93, v101, v93 row_shr:8 row_mask:0xf bank_mask:0xf bound_ctrl:1// 0000000040E8: 28BABAFA FF091865
	v_or_b32_dpp v94, v102, v94 row_shr:8 row_mask:0xf bank_mask:0xf bound_ctrl:1// 0000000040F0: 28BCBCFA FF091866
	v_or_b32_dpp v95, v103, v95 row_shr:8 row_mask:0xf bank_mask:0xf bound_ctrl:1// 0000000040F8: 28BEBEFA FF091867
	v_cvt_f32_i32_e32 v88, v88                                 // 000000004100: 7EB00B58
	v_cvt_f32_i32_e32 v89, v89                                 // 000000004104: 7EB20B59
	v_cvt_f32_i32_e32 v90, v90                                 // 000000004108: 7EB40B5A
	v_cvt_f32_i32_e32 v91, v91                                 // 00000000410C: 7EB60B5B
	v_cvt_f32_i32_e32 v92, v92                                 // 000000004110: 7EB80B5C
	v_cvt_f32_i32_e32 v93, v93                                 // 000000004114: 7EBA0B5D
	v_cvt_f32_i32_e32 v94, v94                                 // 000000004118: 7EBC0B5E
	v_cvt_f32_i32_e32 v95, v95                                 // 00000000411C: 7EBE0B5F
	v_mul_f32_e32 v88, v46, v88                                // 000000004120: 0AB0B12E
	v_mul_f32_e32 v89, v46, v89                                // 000000004124: 0AB2B32E
	v_mul_f32_e32 v90, v46, v90                                // 000000004128: 0AB4B52E
	v_mul_f32_e32 v91, v46, v91                                // 00000000412C: 0AB6B72E
	v_mul_f32_e32 v92, v46, v92                                // 000000004130: 0AB8B92E
	v_mul_f32_e32 v93, v46, v93                                // 000000004134: 0ABABB2E
	v_mul_f32_e32 v94, v46, v94                                // 000000004138: 0ABCBD2E
	v_mul_f32_e32 v95, v46, v95                                // 00000000413C: 0ABEBF2E
	v_mul_f32_dpp v88, v124, v88 quad_perm:[0,0,0,0] row_mask:0xf bank_mask:0xf// 000000004140: 0AB0B0FA FF00007C
	v_mul_f32_dpp v89, v124, v89 quad_perm:[1,1,1,1] row_mask:0xf bank_mask:0xf// 000000004148: 0AB2B2FA FF00557C
	v_mul_f32_dpp v90, v124, v90 quad_perm:[2,2,2,2] row_mask:0xf bank_mask:0xf// 000000004150: 0AB4B4FA FF00AA7C
	v_mul_f32_dpp v91, v124, v91 quad_perm:[3,3,3,3] row_mask:0xf bank_mask:0xf// 000000004158: 0AB6B6FA FF00FF7C
	v_mul_f32_dpp v92, v125, v92 quad_perm:[0,0,0,0] row_mask:0xf bank_mask:0xf// 000000004160: 0AB8B8FA FF00007D
	v_mul_f32_dpp v93, v125, v93 quad_perm:[1,1,1,1] row_mask:0xf bank_mask:0xf// 000000004168: 0ABABAFA FF00557D
	v_mul_f32_dpp v94, v125, v94 quad_perm:[2,2,2,2] row_mask:0xf bank_mask:0xf// 000000004170: 0ABCBCFA FF00AA7D
	v_mul_f32_dpp v95, v125, v95 quad_perm:[3,3,3,3] row_mask:0xf bank_mask:0xf// 000000004178: 0ABEBEFA FF00FF7D
	s_and_b32 s60, s72, 0xff                                   // 000000004180: 863CFF48 000000FF
	v_mov_b32_e32 v62, s60                                     // 000000004188: 7E7C023C
	v_lshrrev_b32_e32 v116, 4, v0                              // 00000000418C: 20E80084
	v_mul_i32_i24_e32 v116, 4, v116                            // 000000004190: 0CE8E884
	v_and_b32_e32 v38, 15, v0                                  // 000000004194: 264C008F
	v_lshrrev_b32_e32 v38, 3, v38                              // 000000004198: 204C4C83
	v_mul_i32_i24_e32 v38, 0x80, v38                           // 00000000419C: 0C4C4CFF 00000080
	v_add_u32_e32 v116, v38, v116                              // 0000000041A4: 68E8E926
	s_mul_i32 s60, s7, 16                                      // 0000000041A8: 923C9007
	v_add_u32_e32 v116, s60, v116                              // 0000000041AC: 68E8E83C
	v_add_u32_e32 v117, 1, v116                                // 0000000041B0: 68EAE881
	v_add_u32_e32 v118, 2, v116                                // 0000000041B4: 68ECE882
	v_add_u32_e32 v119, 3, v116                                // 0000000041B8: 68EEE883
	v_cmp_lt_u32_e64 s[40:41], v116, v62                       // 0000000041BC: D0C90028 00027D74
	v_add_u32_e32 v116, 64, v116                               // 0000000041C4: 68E8E8C0
	s_nop 0                                                    // 0000000041C8: BF800000
	v_cndmask_b32_e64 v88, v52, v88, s[40:41]                  // 0000000041CC: D1000058 00A2B134
	v_cmp_lt_u32_e64 s[40:41], v117, v62                       // 0000000041D4: D0C90028 00027D75
	v_add_u32_e32 v117, 64, v117                               // 0000000041DC: 68EAEAC0
	s_nop 0                                                    // 0000000041E0: BF800000
	v_cndmask_b32_e64 v89, v52, v89, s[40:41]                  // 0000000041E4: D1000059 00A2B334
	v_cmp_lt_u32_e64 s[40:41], v118, v62                       // 0000000041EC: D0C90028 00027D76
	v_add_u32_e32 v118, 64, v118                               // 0000000041F4: 68ECECC0
	s_nop 0                                                    // 0000000041F8: BF800000
	v_cndmask_b32_e64 v90, v52, v90, s[40:41]                  // 0000000041FC: D100005A 00A2B534
	v_cmp_lt_u32_e64 s[40:41], v119, v62                       // 000000004204: D0C90028 00027D77
	v_add_u32_e32 v119, 64, v119                               // 00000000420C: 68EEEEC0
	s_nop 0                                                    // 000000004210: BF800000
	v_cndmask_b32_e64 v91, v52, v91, s[40:41]                  // 000000004214: D100005B 00A2B734
	v_cmp_lt_u32_e64 s[40:41], v116, v62                       // 00000000421C: D0C90028 00027D74
	v_add_u32_e32 v116, 64, v116                               // 000000004224: 68E8E8C0
	s_nop 0                                                    // 000000004228: BF800000
	v_cndmask_b32_e64 v92, v52, v92, s[40:41]                  // 00000000422C: D100005C 00A2B934
	v_cmp_lt_u32_e64 s[40:41], v117, v62                       // 000000004234: D0C90028 00027D75
	v_add_u32_e32 v117, 64, v117                               // 00000000423C: 68EAEAC0
	s_nop 0                                                    // 000000004240: BF800000
	v_cndmask_b32_e64 v93, v52, v93, s[40:41]                  // 000000004244: D100005D 00A2BB34
	v_cmp_lt_u32_e64 s[40:41], v118, v62                       // 00000000424C: D0C90028 00027D76
	v_add_u32_e32 v118, 64, v118                               // 000000004254: 68ECECC0
	s_nop 0                                                    // 000000004258: BF800000
	v_cndmask_b32_e64 v94, v52, v94, s[40:41]                  // 00000000425C: D100005E 00A2BD34
	v_cmp_lt_u32_e64 s[40:41], v119, v62                       // 000000004264: D0C90028 00027D77
	v_add_u32_e32 v119, 64, v119                               // 00000000426C: 68EEEEC0
	s_nop 0                                                    // 000000004270: BF800000
	v_cndmask_b32_e64 v95, v52, v95, s[40:41]                  // 000000004274: D100005F 00A2BF34
	v_mov_b32_e32 v48, v88                                     // 00000000427C: 7E600358
	v_max3_f32 v48, v88, v89, v48                              // 000000004280: D1D30030 04C2B358
	v_max3_f32 v48, v90, v91, v48                              // 000000004288: D1D30030 04C2B75A
	v_max3_f32 v48, v92, v93, v48                              // 000000004290: D1D30030 04C2BB5C
	v_max3_f32 v48, v94, v95, v48                              // 000000004298: D1D30030 04C2BF5E
	ds_write_b32 v11, v48 offset:4224                          // 0000000042A0: D81A1080 0000300B
	v_mul_u32_u24_dpp v38, v17, v51 row_newbcast:1 row_mask:0xf bank_mask:0xf// 0000000042A8: 104C66FA FF015111
	v_mul_u32_u24_dpp v39, v17, v51 row_newbcast:5 row_mask:0xf bank_mask:0xf// 0000000042B0: 104E66FA FF015511
	v_mul_u32_u24_dpp v40, v17, v51 row_newbcast:9 row_mask:0xf bank_mask:0xf// 0000000042B8: 105066FA FF015911
	v_mul_u32_u24_dpp v41, v17, v51 row_newbcast:13 row_mask:0xf bank_mask:0xf// 0000000042C0: 105266FA FF015D11
	v_add_u32_e32 v34, v38, v7                                 // 0000000042C8: 68440F26
	v_add_u32_e32 v35, v39, v7                                 // 0000000042CC: 68460F27
	v_add_u32_e32 v36, v40, v7                                 // 0000000042D0: 68480F28
	v_add_u32_e32 v37, v41, v7                                 // 0000000042D4: 684A0F29
	s_waitcnt lgkmcnt(0)                                       // 0000000042D8: BF8CC07F
	s_barrier                                                  // 0000000042DC: BF8A0000
	ds_read_b32 v64, v10 offset:4224                           // 0000000042E0: D86C1080 4000000A
	ds_read_b32 v65, v10 offset:4288                           // 0000000042E8: D86C10C0 4100000A
	ds_read_b32 v66, v10 offset:4352                           // 0000000042F0: D86C1100 4200000A
	ds_read_b32 v67, v10 offset:4416                           // 0000000042F8: D86C1140 4300000A
	ds_read_b32 v68, v10 offset:4480                           // 000000004300: D86C1180 4400000A
	ds_read_b32 v69, v10 offset:4544                           // 000000004308: D86C11C0 4500000A
	ds_read_b32 v70, v10 offset:4608                           // 000000004310: D86C1200 4600000A
	ds_read_b32 v71, v10 offset:4672                           // 000000004318: D86C1240 4700000A
	ds_read_b32 v72, v10 offset:4736                           // 000000004320: D86C1280 4800000A
	ds_read_b32 v73, v10 offset:4800                           // 000000004328: D86C12C0 4900000A
	ds_read_b32 v74, v10 offset:4864                           // 000000004330: D86C1300 4A00000A
	ds_read_b32 v75, v10 offset:4928                           // 000000004338: D86C1340 4B00000A
	ds_read_b32 v76, v10 offset:4992                           // 000000004340: D86C1380 4C00000A
	ds_read_b32 v77, v10 offset:5056                           // 000000004348: D86C13C0 4D00000A
	ds_read_b32 v78, v10 offset:5120                           // 000000004350: D86C1400 4E00000A
	ds_read_b32 v79, v10 offset:5184                           // 000000004358: D86C1440 4F00000A
	v_mul_f32_e32 v112, v49, v112                              // 000000004360: 0AE0E131
	v_mul_f32_e32 v113, v49, v113                              // 000000004364: 0AE2E331
	v_mul_f32_e32 v114, v49, v114                              // 000000004368: 0AE4E531
	v_mul_f32_e32 v115, v49, v115                              // 00000000436C: 0AE6E731
	v_or_b32_dpp v104, v108, v104 row_shr:8 row_mask:0xf bank_mask:0xf bound_ctrl:1// 000000004370: 28D0D0FA FF09186C
	v_or_b32_dpp v105, v109, v105 row_shr:8 row_mask:0xf bank_mask:0xf bound_ctrl:1// 000000004378: 28D2D2FA FF09186D
	v_or_b32_dpp v106, v110, v106 row_shr:8 row_mask:0xf bank_mask:0xf bound_ctrl:1// 000000004380: 28D4D4FA FF09186E
	v_or_b32_dpp v107, v111, v107 row_shr:8 row_mask:0xf bank_mask:0xf bound_ctrl:1// 000000004388: 28D6D6FA FF09186F
	s_waitcnt lgkmcnt(0)                                       // 000000004390: BF8CC07F
	v_max3_f32 v48, v64, v65, v48                              // 000000004394: D1D30030 04C28340
	v_max3_f32 v48, v66, v67, v48                              // 00000000439C: D1D30030 04C28742
	v_max3_f32 v48, v68, v69, v48                              // 0000000043A4: D1D30030 04C28B44
	v_max3_f32 v48, v70, v71, v48                              // 0000000043AC: D1D30030 04C28F46
	v_max3_f32 v48, v72, v73, v48                              // 0000000043B4: D1D30030 04C29348
	v_max3_f32 v48, v74, v75, v48                              // 0000000043BC: D1D30030 04C2974A
	v_max3_f32 v48, v76, v77, v48                              // 0000000043C4: D1D30030 04C29B4C
	v_max3_f32 v48, v78, v79, v48                              // 0000000043CC: D1D30030 04C29F4E
	v_cmp_eq_u32_e64 s[40:41], v52, v14                        // 0000000043D4: D0CA0028 00021D34
	s_nop 1                                                    // 0000000043DC: BF800001
	v_mov_b32_dpp v38, v48 row_ror:8 row_mask:0xf bank_mask:0xf// 0000000043E0: 7E4C02FA FF012830
	v_max_f32_e32 v48, v48, v38                                // 0000000043E8: 16604D30
	v_max_f32_e32 v15, v48, v14                                // 0000000043EC: 161E1D30
	v_mul_f32_e32 v50, s64, v15                                // 0000000043F0: 0A641E40
	v_fma_f32 v88, v88, s64, -v50                              // 0000000043F4: D1CB0058 84C88158
	v_fma_f32 v89, v89, s64, -v50                              // 0000000043FC: D1CB0059 84C88159
	v_fma_f32 v90, v90, s64, -v50                              // 000000004404: D1CB005A 84C8815A
	v_fma_f32 v91, v91, s64, -v50                              // 00000000440C: D1CB005B 84C8815B
	v_fma_f32 v92, v92, s64, -v50                              // 000000004414: D1CB005C 84C8815C
	v_fma_f32 v93, v93, s64, -v50                              // 00000000441C: D1CB005D 84C8815D
	v_fma_f32 v94, v94, s64, -v50                              // 000000004424: D1CB005E 84C8815E
	v_fma_f32 v95, v95, s64, -v50                              // 00000000442C: D1CB005F 84C8815F
	v_exp_f32_e32 v88, v88                                     // 000000004434: 7EB04158
	v_exp_f32_e32 v89, v89                                     // 000000004438: 7EB24159
	v_exp_f32_e32 v90, v90                                     // 00000000443C: 7EB4415A
	v_exp_f32_e32 v91, v91                                     // 000000004440: 7EB6415B
	v_exp_f32_e32 v92, v92                                     // 000000004444: 7EB8415C
	v_exp_f32_e32 v93, v93                                     // 000000004448: 7EBA415D
	v_exp_f32_e32 v94, v94                                     // 00000000444C: 7EBC415E
	v_exp_f32_e32 v95, v95                                     // 000000004450: 7EBE415F
	v_mul_f32_dpp v128, v126, v88 quad_perm:[0,0,0,0] row_mask:0xf bank_mask:0xf// 000000004454: 0B00B0FA FF00007E
	v_mul_f32_dpp v129, v126, v89 quad_perm:[1,1,1,1] row_mask:0xf bank_mask:0xf// 00000000445C: 0B02B2FA FF00557E
	v_mul_f32_dpp v130, v126, v90 quad_perm:[2,2,2,2] row_mask:0xf bank_mask:0xf// 000000004464: 0B04B4FA FF00AA7E
	v_mul_f32_dpp v131, v126, v91 quad_perm:[3,3,3,3] row_mask:0xf bank_mask:0xf// 00000000446C: 0B06B6FA FF00FF7E
	v_mul_f32_dpp v132, v127, v92 quad_perm:[0,0,0,0] row_mask:0xf bank_mask:0xf// 000000004474: 0B08B8FA FF00007F
	v_mul_f32_dpp v133, v127, v93 quad_perm:[1,1,1,1] row_mask:0xf bank_mask:0xf// 00000000447C: 0B0ABAFA FF00557F
	v_mul_f32_dpp v134, v127, v94 quad_perm:[2,2,2,2] row_mask:0xf bank_mask:0xf// 000000004484: 0B0CBCFA FF00AA7F
	v_mul_f32_dpp v135, v127, v95 quad_perm:[3,3,3,3] row_mask:0xf bank_mask:0xf// 00000000448C: 0B0EBEFA FF00FF7F
	v_mov_b32_e32 v48, 0x358637bd                              // 000000004494: 7E6002FF 358637BD
	v_max3_f32 v48, |v128|, |v129|, v48                        // 00000000449C: D1D30330 04C30380
	v_max3_f32 v48, |v130|, |v131|, v48                        // 0000000044A4: D1D30330 04C30782
	v_max3_f32 v48, |v132|, |v133|, v48                        // 0000000044AC: D1D30330 04C30B84
	v_max3_f32 v48, |v134|, |v135|, v48                        // 0000000044B4: D1D30330 04C30F86
	ds_write_b32 v11, v48 offset:5248                          // 0000000044BC: D81A1480 0000300B
	v_sub_f32_e32 v49, v14, v15                                // 0000000044C4: 04621F0E
	v_cndmask_b32_e64 v49, v49, 0, s[40:41]                    // 0000000044C8: D1000031 00A10131
	v_mov_b32_e32 v14, v15                                     // 0000000044D0: 7E1C030F
	v_mul_f32_e32 v49, s64, v49                                // 0000000044D4: 0A626240
	v_exp_f32_e32 v49, v49                                     // 0000000044D8: 7E624131
	s_waitcnt lgkmcnt(0)                                       // 0000000044DC: BF8CC07F
	s_barrier                                                  // 0000000044E0: BF8A0000
	ds_read_b32 v64, v10 offset:5248                           // 0000000044E4: D86C1480 4000000A
	ds_read_b32 v65, v10 offset:5312                           // 0000000044EC: D86C14C0 4100000A
	ds_read_b32 v66, v10 offset:5376                           // 0000000044F4: D86C1500 4200000A
	ds_read_b32 v67, v10 offset:5440                           // 0000000044FC: D86C1540 4300000A
	ds_read_b32 v68, v10 offset:5504                           // 000000004504: D86C1580 4400000A
	ds_read_b32 v69, v10 offset:5568                           // 00000000450C: D86C15C0 4500000A
	ds_read_b32 v70, v10 offset:5632                           // 000000004514: D86C1600 4600000A
	ds_read_b32 v71, v10 offset:5696                           // 00000000451C: D86C1640 4700000A
	ds_read_b32 v72, v10 offset:5760                           // 000000004524: D86C1680 4800000A
	ds_read_b32 v73, v10 offset:5824                           // 00000000452C: D86C16C0 4900000A
	ds_read_b32 v74, v10 offset:5888                           // 000000004534: D86C1700 4A00000A
	ds_read_b32 v75, v10 offset:5952                           // 00000000453C: D86C1740 4B00000A
	ds_read_b32 v76, v10 offset:6016                           // 000000004544: D86C1780 4C00000A
	ds_read_b32 v77, v10 offset:6080                           // 00000000454C: D86C17C0 4D00000A
	ds_read_b32 v78, v10 offset:6144                           // 000000004554: D86C1800 4E00000A
	ds_read_b32 v79, v10 offset:6208                           // 00000000455C: D86C1840 4F00000A
	v_mul_f32_e32 v42, v49, v42                                // 000000004564: 0A545531
	v_mov_b32_e32 v43, v88                                     // 000000004568: 7E560358
	v_add_f32_e32 v43, v89, v43                                // 00000000456C: 02565759
	v_add_f32_e32 v43, v90, v43                                // 000000004570: 0256575A
	v_add_f32_e32 v43, v91, v43                                // 000000004574: 0256575B
	v_add_f32_e32 v43, v92, v43                                // 000000004578: 0256575C
	v_add_f32_e32 v43, v93, v43                                // 00000000457C: 0256575D
	v_add_f32_e32 v43, v94, v43                                // 000000004580: 0256575E
	v_add_f32_e32 v43, v95, v43                                // 000000004584: 0256575F
	v_add_f32_e32 v42, v43, v42                                // 000000004588: 0254552B
	s_waitcnt lgkmcnt(0)                                       // 00000000458C: BF8CC07F
	v_max3_f32 v48, |v64|, |v65|, v48                          // 000000004590: D1D30330 04C28340
	v_max3_f32 v48, |v66|, |v67|, v48                          // 000000004598: D1D30330 04C28742
	v_max3_f32 v48, |v68|, |v69|, v48                          // 0000000045A0: D1D30330 04C28B44
	v_max3_f32 v48, |v70|, |v71|, v48                          // 0000000045A8: D1D30330 04C28F46
	v_max3_f32 v48, |v72|, |v73|, v48                          // 0000000045B0: D1D30330 04C29348
	v_max3_f32 v48, |v74|, |v75|, v48                          // 0000000045B8: D1D30330 04C2974A
	v_max3_f32 v48, |v76|, |v77|, v48                          // 0000000045C0: D1D30330 04C29B4C
	v_max3_f32 v48, |v78|, |v79|, v48                          // 0000000045C8: D1D30330 04C29F4E
	s_nop 2                                                    // 0000000045D0: BF800002
	v_mov_b32_dpp v38, v48 row_ror:8 row_mask:0xf bank_mask:0xf// 0000000045D4: 7E4C02FA FF012830
	v_max_f32_e32 v48, v48, v38                                // 0000000045DC: 16604D30
	v_rcp_f32_e32 v48, v48                                     // 0000000045E0: 7E604530
	s_nop 1                                                    // 0000000045E4: BF800001
	v_mul_f32_e32 v48, 0x42fe0000, v48                         // 0000000045E8: 0A6060FF 42FE0000
	v_mul_f32_e32 v88, v48, v128                               // 0000000045F0: 0AB10130
	v_mul_f32_e32 v89, v48, v129                               // 0000000045F4: 0AB30330
	v_mul_f32_e32 v90, v48, v130                               // 0000000045F8: 0AB50530
	v_mul_f32_e32 v91, v48, v131                               // 0000000045FC: 0AB70730
	v_mul_f32_e32 v92, v48, v132                               // 000000004600: 0AB90930
	v_mul_f32_e32 v93, v48, v133                               // 000000004604: 0ABB0B30
	v_mul_f32_e32 v94, v48, v134                               // 000000004608: 0ABD0D30
	v_mul_f32_e32 v95, v48, v135                               // 00000000460C: 0ABF0F30
	v_cvt_i32_f32_e32 v88, v88                                 // 000000004610: 7EB01158
	v_cvt_i32_f32_e32 v89, v89                                 // 000000004614: 7EB21159
	v_cvt_i32_f32_e32 v90, v90                                 // 000000004618: 7EB4115A
	v_cvt_i32_f32_e32 v91, v91                                 // 00000000461C: 7EB6115B
	v_cvt_i32_f32_e32 v92, v92                                 // 000000004620: 7EB8115C
	v_cvt_i32_f32_e32 v93, v93                                 // 000000004624: 7EBA115D
	v_cvt_i32_f32_e32 v94, v94                                 // 000000004628: 7EBC115E
	v_cvt_i32_f32_e32 v95, v95                                 // 00000000462C: 7EBE115F
	v_perm_b32 v88, v89, v88, s53                              // 000000004630: D1ED0058 00D6B159
	v_perm_b32 v88, v90, v88, s54                              // 000000004638: D1ED0058 00DAB15A
	v_perm_b32 v88, v91, v88, s55                              // 000000004640: D1ED0058 00DEB15B
	v_perm_b32 v89, v93, v92, s53                              // 000000004648: D1ED0059 00D6B95D
	v_perm_b32 v89, v94, v89, s54                              // 000000004650: D1ED0059 00DAB35E
	v_perm_b32 v89, v95, v89, s55                              // 000000004658: D1ED0059 00DEB35F
	ds_write_b32 v13, v88 offset:6272                          // 000000004660: D81A1880 0000580D
	ds_write_b32 v13, v89 offset:7296                          // 000000004668: D81A1C80 0000590D
	v_cvt_f32_i32_e32 v104, v104                               // 000000004670: 7ED00B68
	v_cvt_f32_i32_e32 v105, v105                               // 000000004674: 7ED20B69
	v_cvt_f32_i32_e32 v106, v106                               // 000000004678: 7ED40B6A
	v_cvt_f32_i32_e32 v107, v107                               // 00000000467C: 7ED60B6B
	v_mul_f32_e32 v104, v47, v104                              // 000000004680: 0AD0D12F
	v_mul_f32_e32 v105, v47, v105                              // 000000004684: 0AD2D32F
	v_mul_f32_e32 v106, v47, v106                              // 000000004688: 0AD4D52F
	v_mul_f32_e32 v107, v47, v107                              // 00000000468C: 0AD6D72F
	v_rcp_f32_e32 v47, v48                                     // 000000004690: 7E5E4530
	s_waitcnt lgkmcnt(0)                                       // 000000004694: BF8CC07F
	s_barrier                                                  // 000000004698: BF8A0000
	ds_read_b64 v[88:89], v12 offset:6272                      // 00000000469C: D8EC1880 5800000C
	ds_read_b64 v[90:91], v12 offset:6400                      // 0000000046A4: D8EC1900 5A00000C
	ds_read_b64 v[92:93], v12 offset:7296                      // 0000000046AC: D8EC1C80 5C00000C
	ds_read_b64 v[94:95], v12 offset:7424                      // 0000000046B4: D8EC1D00 5E00000C
	v_add_f32_e32 v112, v112, v104                             // 0000000046BC: 02E0D170
	v_add_f32_e32 v113, v113, v105                             // 0000000046C0: 02E2D371
	v_add_f32_e32 v114, v114, v106                             // 0000000046C4: 02E4D572
	v_add_f32_e32 v115, v115, v107                             // 0000000046C8: 02E6D773
	s_waitcnt lgkmcnt(3)                                       // 0000000046CC: BF8CC37F
	v_mov_b32_dpp v96, v88 row_shl:8 row_mask:0xf bank_mask:0xf bound_ctrl:1// 0000000046D0: 7EC002FA FF090858
	v_and_b32_e32 v88, v88, v9                                 // 0000000046D8: 26B01358
	v_mov_b32_dpp v97, v89 row_shl:8 row_mask:0xf bank_mask:0xf bound_ctrl:1// 0000000046DC: 7EC202FA FF090859
	v_and_b32_e32 v89, v89, v9                                 // 0000000046E4: 26B21359
	s_waitcnt lgkmcnt(2)                                       // 0000000046E8: BF8CC27F
	v_mov_b32_dpp v98, v90 row_shl:8 row_mask:0xf bank_mask:0xf bound_ctrl:1// 0000000046EC: 7EC402FA FF09085A
	v_and_b32_e32 v90, v90, v9                                 // 0000000046F4: 26B4135A
	v_mov_b32_dpp v99, v91 row_shl:8 row_mask:0xf bank_mask:0xf bound_ctrl:1// 0000000046F8: 7EC602FA FF09085B
	v_and_b32_e32 v91, v91, v9                                 // 000000004700: 26B6135B
	s_waitcnt lgkmcnt(1)                                       // 000000004704: BF8CC17F
	v_mov_b32_dpp v100, v92 row_shl:8 row_mask:0xf bank_mask:0xf bound_ctrl:1// 000000004708: 7EC802FA FF09085C
	v_and_b32_e32 v92, v92, v9                                 // 000000004710: 26B8135C
	v_mov_b32_dpp v101, v93 row_shl:8 row_mask:0xf bank_mask:0xf bound_ctrl:1// 000000004714: 7ECA02FA FF09085D
	v_and_b32_e32 v93, v93, v9                                 // 00000000471C: 26BA135D
	s_waitcnt lgkmcnt(0)                                       // 000000004720: BF8CC07F
	v_mov_b32_dpp v102, v94 row_shl:8 row_mask:0xf bank_mask:0xf bound_ctrl:1// 000000004724: 7ECC02FA FF09085E
	v_and_b32_e32 v94, v94, v9                                 // 00000000472C: 26BC135E
	v_mov_b32_dpp v103, v95 row_shl:8 row_mask:0xf bank_mask:0xf bound_ctrl:1// 000000004730: 7ECE02FA FF09085F
	v_and_b32_e32 v95, v95, v9                                 // 000000004738: 26BE135F
	s_waitcnt vmcnt(0)                                         // 00000000473C: BF8C0F70
	s_barrier                                                  // 000000004740: BF8A0000
	v_mfma_i32_16x16x32_i8 v[104:107], a[64:65], v[88:89], 0   // 000000004744: D3D70068 0A02B140
	v_mfma_i32_16x16x32_i8 v[104:107], a[66:67], v[90:91], v[104:107]// 00000000474C: D3D70068 0DA2B542
	v_mfma_i32_16x16x32_i8 v[104:107], a[68:69], v[92:93], v[104:107]// 000000004754: D3D70068 0DA2B944
	v_mfma_i32_16x16x32_i8 v[104:107], a[70:71], v[94:95], v[104:107]// 00000000475C: D3D70068 0DA2BD46
	v_mfma_i32_16x16x32_i8 v[104:107], a[72:73], v[96:97], v[104:107]// 000000004764: D3D70068 0DA2C148
	v_mfma_i32_16x16x32_i8 v[104:107], a[74:75], v[98:99], v[104:107]// 00000000476C: D3D70068 0DA2C54A
	v_mfma_i32_16x16x32_i8 v[104:107], a[76:77], v[100:101], v[104:107]// 000000004774: D3D70068 0DA2C94C
	v_mfma_i32_16x16x32_i8 v[104:107], a[78:79], v[102:103], v[104:107]// 00000000477C: D3D70068 0DA2CD4E
	v_mfma_i32_16x16x32_i8 v[108:111], a[80:81], v[88:89], 0   // 000000004784: D3D7006C 0A02B150
	v_mfma_i32_16x16x32_i8 v[108:111], a[82:83], v[90:91], v[108:111]// 00000000478C: D3D7006C 0DB2B552
	v_mfma_i32_16x16x32_i8 v[108:111], a[84:85], v[92:93], v[108:111]// 000000004794: D3D7006C 0DB2B954
	v_mfma_i32_16x16x32_i8 v[108:111], a[86:87], v[94:95], v[108:111]// 00000000479C: D3D7006C 0DB2BD56
	v_mfma_i32_16x16x32_i8 v[108:111], a[88:89], v[96:97], v[108:111]// 0000000047A4: D3D7006C 0DB2C158
	v_mfma_i32_16x16x32_i8 v[108:111], a[90:91], v[98:99], v[108:111]// 0000000047AC: D3D7006C 0DB2C55A
	v_mfma_i32_16x16x32_i8 v[108:111], a[92:93], v[100:101], v[108:111]// 0000000047B4: D3D7006C 0DB2C95C
	v_mfma_i32_16x16x32_i8 v[108:111], a[94:95], v[102:103], v[108:111]// 0000000047BC: D3D7006C 0DB2CD5E
	s_nop 4                                                    // 0000000047C4: BF800004
	s_branch label_0DA8                                        // 0000000047C8: BF8201F5

00000000000047cc <label_0BB3>:
	s_waitcnt vmcnt(8) lgkmcnt(0)                              // 0000000047CC: BF8C0078
	s_barrier                                                  // 0000000047D0: BF8A0000
	v_mfma_i32_16x16x32_i8 v[88:91], a[32:33], v[80:81], 0     // 0000000047D4: D3D70058 0A02A120
	v_mfma_i32_16x16x32_i8 v[88:91], a[34:35], v[82:83], v[88:91]// 0000000047DC: D3D70058 0D62A522
	v_mfma_i32_16x16x32_i8 v[88:91], a[36:37], v[84:85], v[88:91]// 0000000047E4: D3D70058 0D62A924
	v_mfma_i32_16x16x32_i8 v[88:91], a[38:39], v[86:87], v[88:91]// 0000000047EC: D3D70058 0D62AD26
	v_mfma_i32_16x16x32_i8 v[92:95], a[40:41], v[80:81], 0     // 0000000047F4: D3D7005C 0A02A128
	v_mfma_i32_16x16x32_i8 v[92:95], a[42:43], v[82:83], v[92:95]// 0000000047FC: D3D7005C 0D72A52A
	v_mfma_i32_16x16x32_i8 v[92:95], a[44:45], v[84:85], v[92:95]// 000000004804: D3D7005C 0D72A92C
	v_mfma_i32_16x16x32_i8 v[92:95], a[46:47], v[86:87], v[92:95]// 00000000480C: D3D7005C 0D72AD2E
	v_mfma_i32_16x16x32_i8 v[96:99], a[48:49], v[80:81], 0     // 000000004814: D3D70060 0A02A130
	v_mfma_i32_16x16x32_i8 v[96:99], a[50:51], v[82:83], v[96:99]// 00000000481C: D3D70060 0D82A532
	v_mfma_i32_16x16x32_i8 v[96:99], a[52:53], v[84:85], v[96:99]// 000000004824: D3D70060 0D82A934
	v_mfma_i32_16x16x32_i8 v[96:99], a[54:55], v[86:87], v[96:99]// 00000000482C: D3D70060 0D82AD36
	v_mfma_i32_16x16x32_i8 v[100:103], a[56:57], v[80:81], 0   // 000000004834: D3D70064 0A02A138
	v_mfma_i32_16x16x32_i8 v[100:103], a[58:59], v[82:83], v[100:103]// 00000000483C: D3D70064 0D92A53A
	v_mfma_i32_16x16x32_i8 v[100:103], a[60:61], v[84:85], v[100:103]// 000000004844: D3D70064 0D92A93C
	v_mfma_i32_16x16x32_i8 v[100:103], a[62:63], v[86:87], v[100:103]// 00000000484C: D3D70064 0D92AD3E
	v_mov_b32_dpp v38, v45 row_shr:4 row_mask:0xf bank_mask:0xf// 000000004854: 7E4C02FA FF01142D
	v_mov_b32_dpp v39, v45 row_shl:4 row_mask:0xf bank_mask:0xf// 00000000485C: 7E4E02FA FF01042D
	v_cndmask_b32_e64 v124, v45, v38, s[44:45]                 // 000000004864: D100007C 00B24D2D
	v_cndmask_b32_e64 v125, v39, v45, s[44:45]                 // 00000000486C: D100007D 00B25B27
	v_mov_b32_dpp v38, v56 row_shr:4 row_mask:0xf bank_mask:0xf// 000000004874: 7E4C02FA FF011438
	v_mov_b32_dpp v39, v56 row_shl:4 row_mask:0xf bank_mask:0xf// 00000000487C: 7E4E02FA FF010438
	v_cndmask_b32_e64 v126, v56, v38, s[44:45]                 // 000000004884: D100007E 00B24D38
	v_cndmask_b32_e64 v127, v39, v56, s[44:45]                 // 00000000488C: D100007F 00B27127
	v_or_b32_dpp v88, v96, v88 row_shr:8 row_mask:0xf bank_mask:0xf bound_ctrl:1// 000000004894: 28B0B0FA FF091860
	v_or_b32_dpp v89, v97, v89 row_shr:8 row_mask:0xf bank_mask:0xf bound_ctrl:1// 00000000489C: 28B2B2FA FF091861
	v_or_b32_dpp v90, v98, v90 row_shr:8 row_mask:0xf bank_mask:0xf bound_ctrl:1// 0000000048A4: 28B4B4FA FF091862
	v_or_b32_dpp v91, v99, v91 row_shr:8 row_mask:0xf bank_mask:0xf bound_ctrl:1// 0000000048AC: 28B6B6FA FF091863
	v_or_b32_dpp v92, v100, v92 row_shr:8 row_mask:0xf bank_mask:0xf bound_ctrl:1// 0000000048B4: 28B8B8FA FF091864
	v_or_b32_dpp v93, v101, v93 row_shr:8 row_mask:0xf bank_mask:0xf bound_ctrl:1// 0000000048BC: 28BABAFA FF091865
	v_or_b32_dpp v94, v102, v94 row_shr:8 row_mask:0xf bank_mask:0xf bound_ctrl:1// 0000000048C4: 28BCBCFA FF091866
	v_or_b32_dpp v95, v103, v95 row_shr:8 row_mask:0xf bank_mask:0xf bound_ctrl:1// 0000000048CC: 28BEBEFA FF091867
	v_cvt_f32_i32_e32 v88, v88                                 // 0000000048D4: 7EB00B58
	v_cvt_f32_i32_e32 v89, v89                                 // 0000000048D8: 7EB20B59
	v_cvt_f32_i32_e32 v90, v90                                 // 0000000048DC: 7EB40B5A
	v_cvt_f32_i32_e32 v91, v91                                 // 0000000048E0: 7EB60B5B
	v_cvt_f32_i32_e32 v92, v92                                 // 0000000048E4: 7EB80B5C
	v_cvt_f32_i32_e32 v93, v93                                 // 0000000048E8: 7EBA0B5D
	v_cvt_f32_i32_e32 v94, v94                                 // 0000000048EC: 7EBC0B5E
	v_cvt_f32_i32_e32 v95, v95                                 // 0000000048F0: 7EBE0B5F
	v_mul_f32_e32 v88, v46, v88                                // 0000000048F4: 0AB0B12E
	v_mul_f32_e32 v89, v46, v89                                // 0000000048F8: 0AB2B32E
	v_mul_f32_e32 v90, v46, v90                                // 0000000048FC: 0AB4B52E
	v_mul_f32_e32 v91, v46, v91                                // 000000004900: 0AB6B72E
	v_mul_f32_e32 v92, v46, v92                                // 000000004904: 0AB8B92E
	v_mul_f32_e32 v93, v46, v93                                // 000000004908: 0ABABB2E
	v_mul_f32_e32 v94, v46, v94                                // 00000000490C: 0ABCBD2E
	v_mul_f32_e32 v95, v46, v95                                // 000000004910: 0ABEBF2E
	v_mul_f32_dpp v88, v124, v88 quad_perm:[0,0,0,0] row_mask:0xf bank_mask:0xf// 000000004914: 0AB0B0FA FF00007C
	v_mul_f32_dpp v89, v124, v89 quad_perm:[1,1,1,1] row_mask:0xf bank_mask:0xf// 00000000491C: 0AB2B2FA FF00557C
	v_mul_f32_dpp v90, v124, v90 quad_perm:[2,2,2,2] row_mask:0xf bank_mask:0xf// 000000004924: 0AB4B4FA FF00AA7C
	v_mul_f32_dpp v91, v124, v91 quad_perm:[3,3,3,3] row_mask:0xf bank_mask:0xf// 00000000492C: 0AB6B6FA FF00FF7C
	v_mul_f32_dpp v92, v125, v92 quad_perm:[0,0,0,0] row_mask:0xf bank_mask:0xf// 000000004934: 0AB8B8FA FF00007D
	v_mul_f32_dpp v93, v125, v93 quad_perm:[1,1,1,1] row_mask:0xf bank_mask:0xf// 00000000493C: 0ABABAFA FF00557D
	v_mul_f32_dpp v94, v125, v94 quad_perm:[2,2,2,2] row_mask:0xf bank_mask:0xf// 000000004944: 0ABCBCFA FF00AA7D
	v_mul_f32_dpp v95, v125, v95 quad_perm:[3,3,3,3] row_mask:0xf bank_mask:0xf// 00000000494C: 0ABEBEFA FF00FF7D
	s_and_b32 s60, s72, 0xff                                   // 000000004954: 863CFF48 000000FF
	v_mov_b32_e32 v62, s60                                     // 00000000495C: 7E7C023C
	v_lshrrev_b32_e32 v116, 4, v0                              // 000000004960: 20E80084
	v_mul_i32_i24_e32 v116, 4, v116                            // 000000004964: 0CE8E884
	v_and_b32_e32 v38, 15, v0                                  // 000000004968: 264C008F
	v_lshrrev_b32_e32 v38, 3, v38                              // 00000000496C: 204C4C83
	v_mul_i32_i24_e32 v38, 0x80, v38                           // 000000004970: 0C4C4CFF 00000080
	v_add_u32_e32 v116, v38, v116                              // 000000004978: 68E8E926
	s_mul_i32 s60, s7, 16                                      // 00000000497C: 923C9007
	v_add_u32_e32 v116, s60, v116                              // 000000004980: 68E8E83C
	v_add_u32_e32 v117, 1, v116                                // 000000004984: 68EAE881
	v_add_u32_e32 v118, 2, v116                                // 000000004988: 68ECE882
	v_add_u32_e32 v119, 3, v116                                // 00000000498C: 68EEE883
	v_cmp_lt_u32_e64 s[40:41], v116, v62                       // 000000004990: D0C90028 00027D74
	v_add_u32_e32 v116, 64, v116                               // 000000004998: 68E8E8C0
	s_nop 0                                                    // 00000000499C: BF800000
	v_cndmask_b32_e64 v88, v52, v88, s[40:41]                  // 0000000049A0: D1000058 00A2B134
	v_cmp_lt_u32_e64 s[40:41], v117, v62                       // 0000000049A8: D0C90028 00027D75
	v_add_u32_e32 v117, 64, v117                               // 0000000049B0: 68EAEAC0
	s_nop 0                                                    // 0000000049B4: BF800000
	v_cndmask_b32_e64 v89, v52, v89, s[40:41]                  // 0000000049B8: D1000059 00A2B334
	v_cmp_lt_u32_e64 s[40:41], v118, v62                       // 0000000049C0: D0C90028 00027D76
	v_add_u32_e32 v118, 64, v118                               // 0000000049C8: 68ECECC0
	s_nop 0                                                    // 0000000049CC: BF800000
	v_cndmask_b32_e64 v90, v52, v90, s[40:41]                  // 0000000049D0: D100005A 00A2B534
	v_cmp_lt_u32_e64 s[40:41], v119, v62                       // 0000000049D8: D0C90028 00027D77
	v_add_u32_e32 v119, 64, v119                               // 0000000049E0: 68EEEEC0
	s_nop 0                                                    // 0000000049E4: BF800000
	v_cndmask_b32_e64 v91, v52, v91, s[40:41]                  // 0000000049E8: D100005B 00A2B734
	v_cmp_lt_u32_e64 s[40:41], v116, v62                       // 0000000049F0: D0C90028 00027D74
	v_add_u32_e32 v116, 64, v116                               // 0000000049F8: 68E8E8C0
	s_nop 0                                                    // 0000000049FC: BF800000
	v_cndmask_b32_e64 v92, v52, v92, s[40:41]                  // 000000004A00: D100005C 00A2B934
	v_cmp_lt_u32_e64 s[40:41], v117, v62                       // 000000004A08: D0C90028 00027D75
	v_add_u32_e32 v117, 64, v117                               // 000000004A10: 68EAEAC0
	s_nop 0                                                    // 000000004A14: BF800000
	v_cndmask_b32_e64 v93, v52, v93, s[40:41]                  // 000000004A18: D100005D 00A2BB34
	v_cmp_lt_u32_e64 s[40:41], v118, v62                       // 000000004A20: D0C90028 00027D76
	v_add_u32_e32 v118, 64, v118                               // 000000004A28: 68ECECC0
	s_nop 0                                                    // 000000004A2C: BF800000
	v_cndmask_b32_e64 v94, v52, v94, s[40:41]                  // 000000004A30: D100005E 00A2BD34
	v_cmp_lt_u32_e64 s[40:41], v119, v62                       // 000000004A38: D0C90028 00027D77
	v_add_u32_e32 v119, 64, v119                               // 000000004A40: 68EEEEC0
	s_nop 0                                                    // 000000004A44: BF800000
	v_cndmask_b32_e64 v95, v52, v95, s[40:41]                  // 000000004A48: D100005F 00A2BF34
	v_mov_b32_e32 v48, v88                                     // 000000004A50: 7E600358
	v_max3_f32 v48, v88, v89, v48                              // 000000004A54: D1D30030 04C2B358
	v_max3_f32 v48, v90, v91, v48                              // 000000004A5C: D1D30030 04C2B75A
	v_max3_f32 v48, v92, v93, v48                              // 000000004A64: D1D30030 04C2BB5C
	v_max3_f32 v48, v94, v95, v48                              // 000000004A6C: D1D30030 04C2BF5E
	ds_write_b32 v11, v48 offset:4224                          // 000000004A74: D81A1080 0000300B
	v_mul_u32_u24_dpp v38, v16, v51 row_newbcast:1 row_mask:0xf bank_mask:0xf// 000000004A7C: 104C66FA FF015110
	v_mul_u32_u24_dpp v39, v16, v51 row_newbcast:5 row_mask:0xf bank_mask:0xf// 000000004A84: 104E66FA FF015510
	v_mul_u32_u24_dpp v40, v16, v51 row_newbcast:9 row_mask:0xf bank_mask:0xf// 000000004A8C: 105066FA FF015910
	v_mul_u32_u24_dpp v41, v16, v51 row_newbcast:13 row_mask:0xf bank_mask:0xf// 000000004A94: 105266FA FF015D10
	v_add_u32_e32 v30, v38, v7                                 // 000000004A9C: 683C0F26
	v_add_u32_e32 v31, v39, v7                                 // 000000004AA0: 683E0F27
	v_add_u32_e32 v32, v40, v7                                 // 000000004AA4: 68400F28
	v_add_u32_e32 v33, v41, v7                                 // 000000004AA8: 68420F29
	s_waitcnt lgkmcnt(0)                                       // 000000004AAC: BF8CC07F
	s_barrier                                                  // 000000004AB0: BF8A0000
	ds_read_b32 v64, v10 offset:4224                           // 000000004AB4: D86C1080 4000000A
	ds_read_b32 v65, v10 offset:4288                           // 000000004ABC: D86C10C0 4100000A
	ds_read_b32 v66, v10 offset:4352                           // 000000004AC4: D86C1100 4200000A
	ds_read_b32 v67, v10 offset:4416                           // 000000004ACC: D86C1140 4300000A
	ds_read_b32 v68, v10 offset:4480                           // 000000004AD4: D86C1180 4400000A
	ds_read_b32 v69, v10 offset:4544                           // 000000004ADC: D86C11C0 4500000A
	ds_read_b32 v70, v10 offset:4608                           // 000000004AE4: D86C1200 4600000A
	ds_read_b32 v71, v10 offset:4672                           // 000000004AEC: D86C1240 4700000A
	ds_read_b32 v72, v10 offset:4736                           // 000000004AF4: D86C1280 4800000A
	ds_read_b32 v73, v10 offset:4800                           // 000000004AFC: D86C12C0 4900000A
	ds_read_b32 v74, v10 offset:4864                           // 000000004B04: D86C1300 4A00000A
	ds_read_b32 v75, v10 offset:4928                           // 000000004B0C: D86C1340 4B00000A
	ds_read_b32 v76, v10 offset:4992                           // 000000004B14: D86C1380 4C00000A
	ds_read_b32 v77, v10 offset:5056                           // 000000004B1C: D86C13C0 4D00000A
	ds_read_b32 v78, v10 offset:5120                           // 000000004B24: D86C1400 4E00000A
	ds_read_b32 v79, v10 offset:5184                           // 000000004B2C: D86C1440 4F00000A
	v_mul_f32_e32 v112, v49, v112                              // 000000004B34: 0AE0E131
	v_mul_f32_e32 v113, v49, v113                              // 000000004B38: 0AE2E331
	v_mul_f32_e32 v114, v49, v114                              // 000000004B3C: 0AE4E531
	v_mul_f32_e32 v115, v49, v115                              // 000000004B40: 0AE6E731
	v_or_b32_dpp v104, v108, v104 row_shr:8 row_mask:0xf bank_mask:0xf bound_ctrl:1// 000000004B44: 28D0D0FA FF09186C
	v_or_b32_dpp v105, v109, v105 row_shr:8 row_mask:0xf bank_mask:0xf bound_ctrl:1// 000000004B4C: 28D2D2FA FF09186D
	v_or_b32_dpp v106, v110, v106 row_shr:8 row_mask:0xf bank_mask:0xf bound_ctrl:1// 000000004B54: 28D4D4FA FF09186E
	v_or_b32_dpp v107, v111, v107 row_shr:8 row_mask:0xf bank_mask:0xf bound_ctrl:1// 000000004B5C: 28D6D6FA FF09186F
	s_waitcnt lgkmcnt(0)                                       // 000000004B64: BF8CC07F
	v_max3_f32 v48, v64, v65, v48                              // 000000004B68: D1D30030 04C28340
	v_max3_f32 v48, v66, v67, v48                              // 000000004B70: D1D30030 04C28742
	v_max3_f32 v48, v68, v69, v48                              // 000000004B78: D1D30030 04C28B44
	v_max3_f32 v48, v70, v71, v48                              // 000000004B80: D1D30030 04C28F46
	v_max3_f32 v48, v72, v73, v48                              // 000000004B88: D1D30030 04C29348
	v_max3_f32 v48, v74, v75, v48                              // 000000004B90: D1D30030 04C2974A
	v_max3_f32 v48, v76, v77, v48                              // 000000004B98: D1D30030 04C29B4C
	v_max3_f32 v48, v78, v79, v48                              // 000000004BA0: D1D30030 04C29F4E
	v_cmp_eq_u32_e64 s[40:41], v52, v14                        // 000000004BA8: D0CA0028 00021D34
	s_nop 1                                                    // 000000004BB0: BF800001
	v_mov_b32_dpp v38, v48 row_ror:8 row_mask:0xf bank_mask:0xf// 000000004BB4: 7E4C02FA FF012830
	v_max_f32_e32 v48, v48, v38                                // 000000004BBC: 16604D30
	v_max_f32_e32 v15, v48, v14                                // 000000004BC0: 161E1D30
	v_mul_f32_e32 v50, s64, v15                                // 000000004BC4: 0A641E40
	v_fma_f32 v88, v88, s64, -v50                              // 000000004BC8: D1CB0058 84C88158
	v_fma_f32 v89, v89, s64, -v50                              // 000000004BD0: D1CB0059 84C88159
	v_fma_f32 v90, v90, s64, -v50                              // 000000004BD8: D1CB005A 84C8815A
	v_fma_f32 v91, v91, s64, -v50                              // 000000004BE0: D1CB005B 84C8815B
	v_fma_f32 v92, v92, s64, -v50                              // 000000004BE8: D1CB005C 84C8815C
	v_fma_f32 v93, v93, s64, -v50                              // 000000004BF0: D1CB005D 84C8815D
	v_fma_f32 v94, v94, s64, -v50                              // 000000004BF8: D1CB005E 84C8815E
	v_fma_f32 v95, v95, s64, -v50                              // 000000004C00: D1CB005F 84C8815F
	v_exp_f32_e32 v88, v88                                     // 000000004C08: 7EB04158
	v_exp_f32_e32 v89, v89                                     // 000000004C0C: 7EB24159
	v_exp_f32_e32 v90, v90                                     // 000000004C10: 7EB4415A
	v_exp_f32_e32 v91, v91                                     // 000000004C14: 7EB6415B
	v_exp_f32_e32 v92, v92                                     // 000000004C18: 7EB8415C
	v_exp_f32_e32 v93, v93                                     // 000000004C1C: 7EBA415D
	v_exp_f32_e32 v94, v94                                     // 000000004C20: 7EBC415E
	v_exp_f32_e32 v95, v95                                     // 000000004C24: 7EBE415F
	v_mul_f32_dpp v128, v126, v88 quad_perm:[0,0,0,0] row_mask:0xf bank_mask:0xf// 000000004C28: 0B00B0FA FF00007E
	v_mul_f32_dpp v129, v126, v89 quad_perm:[1,1,1,1] row_mask:0xf bank_mask:0xf// 000000004C30: 0B02B2FA FF00557E
	v_mul_f32_dpp v130, v126, v90 quad_perm:[2,2,2,2] row_mask:0xf bank_mask:0xf// 000000004C38: 0B04B4FA FF00AA7E
	v_mul_f32_dpp v131, v126, v91 quad_perm:[3,3,3,3] row_mask:0xf bank_mask:0xf// 000000004C40: 0B06B6FA FF00FF7E
	v_mul_f32_dpp v132, v127, v92 quad_perm:[0,0,0,0] row_mask:0xf bank_mask:0xf// 000000004C48: 0B08B8FA FF00007F
	v_mul_f32_dpp v133, v127, v93 quad_perm:[1,1,1,1] row_mask:0xf bank_mask:0xf// 000000004C50: 0B0ABAFA FF00557F
	v_mul_f32_dpp v134, v127, v94 quad_perm:[2,2,2,2] row_mask:0xf bank_mask:0xf// 000000004C58: 0B0CBCFA FF00AA7F
	v_mul_f32_dpp v135, v127, v95 quad_perm:[3,3,3,3] row_mask:0xf bank_mask:0xf// 000000004C60: 0B0EBEFA FF00FF7F
	v_mov_b32_e32 v48, 0x358637bd                              // 000000004C68: 7E6002FF 358637BD
	v_max3_f32 v48, |v128|, |v129|, v48                        // 000000004C70: D1D30330 04C30380
	v_max3_f32 v48, |v130|, |v131|, v48                        // 000000004C78: D1D30330 04C30782
	v_max3_f32 v48, |v132|, |v133|, v48                        // 000000004C80: D1D30330 04C30B84
	v_max3_f32 v48, |v134|, |v135|, v48                        // 000000004C88: D1D30330 04C30F86
	ds_write_b32 v11, v48 offset:5248                          // 000000004C90: D81A1480 0000300B
	v_sub_f32_e32 v49, v14, v15                                // 000000004C98: 04621F0E
	v_cndmask_b32_e64 v49, v49, 0, s[40:41]                    // 000000004C9C: D1000031 00A10131
	v_mov_b32_e32 v14, v15                                     // 000000004CA4: 7E1C030F
	v_mul_f32_e32 v49, s64, v49                                // 000000004CA8: 0A626240
	v_exp_f32_e32 v49, v49                                     // 000000004CAC: 7E624131
	s_waitcnt lgkmcnt(0)                                       // 000000004CB0: BF8CC07F
	s_barrier                                                  // 000000004CB4: BF8A0000
	ds_read_b32 v64, v10 offset:5248                           // 000000004CB8: D86C1480 4000000A
	ds_read_b32 v65, v10 offset:5312                           // 000000004CC0: D86C14C0 4100000A
	ds_read_b32 v66, v10 offset:5376                           // 000000004CC8: D86C1500 4200000A
	ds_read_b32 v67, v10 offset:5440                           // 000000004CD0: D86C1540 4300000A
	ds_read_b32 v68, v10 offset:5504                           // 000000004CD8: D86C1580 4400000A
	ds_read_b32 v69, v10 offset:5568                           // 000000004CE0: D86C15C0 4500000A
	ds_read_b32 v70, v10 offset:5632                           // 000000004CE8: D86C1600 4600000A
	ds_read_b32 v71, v10 offset:5696                           // 000000004CF0: D86C1640 4700000A
	ds_read_b32 v72, v10 offset:5760                           // 000000004CF8: D86C1680 4800000A
	ds_read_b32 v73, v10 offset:5824                           // 000000004D00: D86C16C0 4900000A
	ds_read_b32 v74, v10 offset:5888                           // 000000004D08: D86C1700 4A00000A
	ds_read_b32 v75, v10 offset:5952                           // 000000004D10: D86C1740 4B00000A
	ds_read_b32 v76, v10 offset:6016                           // 000000004D18: D86C1780 4C00000A
	ds_read_b32 v77, v10 offset:6080                           // 000000004D20: D86C17C0 4D00000A
	ds_read_b32 v78, v10 offset:6144                           // 000000004D28: D86C1800 4E00000A
	ds_read_b32 v79, v10 offset:6208                           // 000000004D30: D86C1840 4F00000A
	v_mul_f32_e32 v42, v49, v42                                // 000000004D38: 0A545531
	v_mov_b32_e32 v43, v88                                     // 000000004D3C: 7E560358
	v_add_f32_e32 v43, v89, v43                                // 000000004D40: 02565759
	v_add_f32_e32 v43, v90, v43                                // 000000004D44: 0256575A
	v_add_f32_e32 v43, v91, v43                                // 000000004D48: 0256575B
	v_add_f32_e32 v43, v92, v43                                // 000000004D4C: 0256575C
	v_add_f32_e32 v43, v93, v43                                // 000000004D50: 0256575D
	v_add_f32_e32 v43, v94, v43                                // 000000004D54: 0256575E
	v_add_f32_e32 v43, v95, v43                                // 000000004D58: 0256575F
	v_add_f32_e32 v42, v43, v42                                // 000000004D5C: 0254552B
	s_waitcnt lgkmcnt(0)                                       // 000000004D60: BF8CC07F
	v_max3_f32 v48, |v64|, |v65|, v48                          // 000000004D64: D1D30330 04C28340
	v_max3_f32 v48, |v66|, |v67|, v48                          // 000000004D6C: D1D30330 04C28742
	v_max3_f32 v48, |v68|, |v69|, v48                          // 000000004D74: D1D30330 04C28B44
	v_max3_f32 v48, |v70|, |v71|, v48                          // 000000004D7C: D1D30330 04C28F46
	v_max3_f32 v48, |v72|, |v73|, v48                          // 000000004D84: D1D30330 04C29348
	v_max3_f32 v48, |v74|, |v75|, v48                          // 000000004D8C: D1D30330 04C2974A
	v_max3_f32 v48, |v76|, |v77|, v48                          // 000000004D94: D1D30330 04C29B4C
	v_max3_f32 v48, |v78|, |v79|, v48                          // 000000004D9C: D1D30330 04C29F4E
	s_nop 2                                                    // 000000004DA4: BF800002
	v_mov_b32_dpp v38, v48 row_ror:8 row_mask:0xf bank_mask:0xf// 000000004DA8: 7E4C02FA FF012830
	v_max_f32_e32 v48, v48, v38                                // 000000004DB0: 16604D30
	v_rcp_f32_e32 v48, v48                                     // 000000004DB4: 7E604530
	s_nop 1                                                    // 000000004DB8: BF800001
	v_mul_f32_e32 v48, 0x42fe0000, v48                         // 000000004DBC: 0A6060FF 42FE0000
	v_mul_f32_e32 v88, v48, v128                               // 000000004DC4: 0AB10130
	v_mul_f32_e32 v89, v48, v129                               // 000000004DC8: 0AB30330
	v_mul_f32_e32 v90, v48, v130                               // 000000004DCC: 0AB50530
	v_mul_f32_e32 v91, v48, v131                               // 000000004DD0: 0AB70730
	v_mul_f32_e32 v92, v48, v132                               // 000000004DD4: 0AB90930
	v_mul_f32_e32 v93, v48, v133                               // 000000004DD8: 0ABB0B30
	v_mul_f32_e32 v94, v48, v134                               // 000000004DDC: 0ABD0D30
	v_mul_f32_e32 v95, v48, v135                               // 000000004DE0: 0ABF0F30
	v_cvt_i32_f32_e32 v88, v88                                 // 000000004DE4: 7EB01158
	v_cvt_i32_f32_e32 v89, v89                                 // 000000004DE8: 7EB21159
	v_cvt_i32_f32_e32 v90, v90                                 // 000000004DEC: 7EB4115A
	v_cvt_i32_f32_e32 v91, v91                                 // 000000004DF0: 7EB6115B
	v_cvt_i32_f32_e32 v92, v92                                 // 000000004DF4: 7EB8115C
	v_cvt_i32_f32_e32 v93, v93                                 // 000000004DF8: 7EBA115D
	v_cvt_i32_f32_e32 v94, v94                                 // 000000004DFC: 7EBC115E
	v_cvt_i32_f32_e32 v95, v95                                 // 000000004E00: 7EBE115F
	v_perm_b32 v88, v89, v88, s53                              // 000000004E04: D1ED0058 00D6B159
	v_perm_b32 v88, v90, v88, s54                              // 000000004E0C: D1ED0058 00DAB15A
	v_perm_b32 v88, v91, v88, s55                              // 000000004E14: D1ED0058 00DEB15B
	v_perm_b32 v89, v93, v92, s53                              // 000000004E1C: D1ED0059 00D6B95D
	v_perm_b32 v89, v94, v89, s54                              // 000000004E24: D1ED0059 00DAB35E
	v_perm_b32 v89, v95, v89, s55                              // 000000004E2C: D1ED0059 00DEB35F
	ds_write_b32 v13, v88 offset:6272                          // 000000004E34: D81A1880 0000580D
	ds_write_b32 v13, v89 offset:7296                          // 000000004E3C: D81A1C80 0000590D
	v_cvt_f32_i32_e32 v104, v104                               // 000000004E44: 7ED00B68
	v_cvt_f32_i32_e32 v105, v105                               // 000000004E48: 7ED20B69
	v_cvt_f32_i32_e32 v106, v106                               // 000000004E4C: 7ED40B6A
	v_cvt_f32_i32_e32 v107, v107                               // 000000004E50: 7ED60B6B
	v_mul_f32_e32 v104, v47, v104                              // 000000004E54: 0AD0D12F
	v_mul_f32_e32 v105, v47, v105                              // 000000004E58: 0AD2D32F
	v_mul_f32_e32 v106, v47, v106                              // 000000004E5C: 0AD4D52F
	v_mul_f32_e32 v107, v47, v107                              // 000000004E60: 0AD6D72F
	v_rcp_f32_e32 v47, v48                                     // 000000004E64: 7E5E4530
	s_waitcnt lgkmcnt(0)                                       // 000000004E68: BF8CC07F
	s_barrier                                                  // 000000004E6C: BF8A0000
	ds_read_b64 v[88:89], v12 offset:6272                      // 000000004E70: D8EC1880 5800000C
	ds_read_b64 v[90:91], v12 offset:6400                      // 000000004E78: D8EC1900 5A00000C
	ds_read_b64 v[92:93], v12 offset:7296                      // 000000004E80: D8EC1C80 5C00000C
	ds_read_b64 v[94:95], v12 offset:7424                      // 000000004E88: D8EC1D00 5E00000C
	v_add_f32_e32 v112, v112, v104                             // 000000004E90: 02E0D170
	v_add_f32_e32 v113, v113, v105                             // 000000004E94: 02E2D371
	v_add_f32_e32 v114, v114, v106                             // 000000004E98: 02E4D572
	v_add_f32_e32 v115, v115, v107                             // 000000004E9C: 02E6D773
	s_waitcnt lgkmcnt(3)                                       // 000000004EA0: BF8CC37F
	v_mov_b32_dpp v96, v88 row_shl:8 row_mask:0xf bank_mask:0xf bound_ctrl:1// 000000004EA4: 7EC002FA FF090858
	v_and_b32_e32 v88, v88, v9                                 // 000000004EAC: 26B01358
	v_mov_b32_dpp v97, v89 row_shl:8 row_mask:0xf bank_mask:0xf bound_ctrl:1// 000000004EB0: 7EC202FA FF090859
	v_and_b32_e32 v89, v89, v9                                 // 000000004EB8: 26B21359
	s_waitcnt lgkmcnt(2)                                       // 000000004EBC: BF8CC27F
	v_mov_b32_dpp v98, v90 row_shl:8 row_mask:0xf bank_mask:0xf bound_ctrl:1// 000000004EC0: 7EC402FA FF09085A
	v_and_b32_e32 v90, v90, v9                                 // 000000004EC8: 26B4135A
	v_mov_b32_dpp v99, v91 row_shl:8 row_mask:0xf bank_mask:0xf bound_ctrl:1// 000000004ECC: 7EC602FA FF09085B
	v_and_b32_e32 v91, v91, v9                                 // 000000004ED4: 26B6135B
	s_waitcnt lgkmcnt(1)                                       // 000000004ED8: BF8CC17F
	v_mov_b32_dpp v100, v92 row_shl:8 row_mask:0xf bank_mask:0xf bound_ctrl:1// 000000004EDC: 7EC802FA FF09085C
	v_and_b32_e32 v92, v92, v9                                 // 000000004EE4: 26B8135C
	v_mov_b32_dpp v101, v93 row_shl:8 row_mask:0xf bank_mask:0xf bound_ctrl:1// 000000004EE8: 7ECA02FA FF09085D
	v_and_b32_e32 v93, v93, v9                                 // 000000004EF0: 26BA135D
	s_waitcnt lgkmcnt(0)                                       // 000000004EF4: BF8CC07F
	v_mov_b32_dpp v102, v94 row_shl:8 row_mask:0xf bank_mask:0xf bound_ctrl:1// 000000004EF8: 7ECC02FA FF09085E
	v_and_b32_e32 v94, v94, v9                                 // 000000004F00: 26BC135E
	v_mov_b32_dpp v103, v95 row_shl:8 row_mask:0xf bank_mask:0xf bound_ctrl:1// 000000004F04: 7ECE02FA FF09085F
	v_and_b32_e32 v95, v95, v9                                 // 000000004F0C: 26BE135F
	s_waitcnt vmcnt(0)                                         // 000000004F10: BF8C0F70
	s_barrier                                                  // 000000004F14: BF8A0000
	v_mfma_i32_16x16x32_i8 v[104:107], a[96:97], v[88:89], 0   // 000000004F18: D3D70068 0A02B160
	v_mfma_i32_16x16x32_i8 v[104:107], a[98:99], v[90:91], v[104:107]// 000000004F20: D3D70068 0DA2B562
	v_mfma_i32_16x16x32_i8 v[104:107], a[100:101], v[92:93], v[104:107]// 000000004F28: D3D70068 0DA2B964
	v_mfma_i32_16x16x32_i8 v[104:107], a[102:103], v[94:95], v[104:107]// 000000004F30: D3D70068 0DA2BD66
	v_mfma_i32_16x16x32_i8 v[104:107], a[104:105], v[96:97], v[104:107]// 000000004F38: D3D70068 0DA2C168
	v_mfma_i32_16x16x32_i8 v[104:107], a[106:107], v[98:99], v[104:107]// 000000004F40: D3D70068 0DA2C56A
	v_mfma_i32_16x16x32_i8 v[104:107], a[108:109], v[100:101], v[104:107]// 000000004F48: D3D70068 0DA2C96C
	v_mfma_i32_16x16x32_i8 v[104:107], a[110:111], v[102:103], v[104:107]// 000000004F50: D3D70068 0DA2CD6E
	v_mfma_i32_16x16x32_i8 v[108:111], a[112:113], v[88:89], 0 // 000000004F58: D3D7006C 0A02B170
	v_mfma_i32_16x16x32_i8 v[108:111], a[114:115], v[90:91], v[108:111]// 000000004F60: D3D7006C 0DB2B572
	v_mfma_i32_16x16x32_i8 v[108:111], a[116:117], v[92:93], v[108:111]// 000000004F68: D3D7006C 0DB2B974
	v_mfma_i32_16x16x32_i8 v[108:111], a[118:119], v[94:95], v[108:111]// 000000004F70: D3D7006C 0DB2BD76
	v_mfma_i32_16x16x32_i8 v[108:111], a[120:121], v[96:97], v[108:111]// 000000004F78: D3D7006C 0DB2C178
	v_mfma_i32_16x16x32_i8 v[108:111], a[122:123], v[98:99], v[108:111]// 000000004F80: D3D7006C 0DB2C57A
	v_mfma_i32_16x16x32_i8 v[108:111], a[124:125], v[100:101], v[108:111]// 000000004F88: D3D7006C 0DB2C97C
	v_mfma_i32_16x16x32_i8 v[108:111], a[126:127], v[102:103], v[108:111]// 000000004F90: D3D7006C 0DB2CD7E
	s_nop 4                                                    // 000000004F98: BF800004
	s_branch label_0DA8                                        // 000000004F9C: BF820000

0000000000004fa0 <label_0DA8>:
	v_mul_f32_e32 v112, v49, v112                              // 000000004FA0: 0AE0E131
	v_mul_f32_e32 v113, v49, v113                              // 000000004FA4: 0AE2E331
	v_mul_f32_e32 v114, v49, v114                              // 000000004FA8: 0AE4E531
	v_mul_f32_e32 v115, v49, v115                              // 000000004FAC: 0AE6E731
	v_or_b32_dpp v104, v108, v104 row_shr:8 row_mask:0xf bank_mask:0xf bound_ctrl:1// 000000004FB0: 28D0D0FA FF09186C
	v_or_b32_dpp v105, v109, v105 row_shr:8 row_mask:0xf bank_mask:0xf bound_ctrl:1// 000000004FB8: 28D2D2FA FF09186D
	v_or_b32_dpp v106, v110, v106 row_shr:8 row_mask:0xf bank_mask:0xf bound_ctrl:1// 000000004FC0: 28D4D4FA FF09186E
	v_or_b32_dpp v107, v111, v107 row_shr:8 row_mask:0xf bank_mask:0xf bound_ctrl:1// 000000004FC8: 28D6D6FA FF09186F
	v_cvt_f32_i32_e32 v104, v104                               // 000000004FD0: 7ED00B68
	v_cvt_f32_i32_e32 v105, v105                               // 000000004FD4: 7ED20B69
	v_cvt_f32_i32_e32 v106, v106                               // 000000004FD8: 7ED40B6A
	v_cvt_f32_i32_e32 v107, v107                               // 000000004FDC: 7ED60B6B
	v_mul_f32_e32 v104, v47, v104                              // 000000004FE0: 0AD0D12F
	v_mul_f32_e32 v105, v47, v105                              // 000000004FE4: 0AD2D32F
	v_mul_f32_e32 v106, v47, v106                              // 000000004FE8: 0AD4D52F
	v_mul_f32_e32 v107, v47, v107                              // 000000004FEC: 0AD6D72F
	v_add_f32_e32 v112, v112, v104                             // 000000004FF0: 02E0D170
	v_add_f32_e32 v113, v113, v105                             // 000000004FF4: 02E2D371
	v_add_f32_e32 v114, v114, v106                             // 000000004FF8: 02E4D572
	v_add_f32_e32 v115, v115, v107                             // 000000004FFC: 02E6D773
	ds_write_b32 v11, v42 offset:4224                          // 000000005000: D81A1080 00002A0B
	s_waitcnt lgkmcnt(0)                                       // 000000005008: BF8CC07F
	s_barrier                                                  // 00000000500C: BF8A0000
	ds_read_b32 v64, v10 offset:4224                           // 000000005010: D86C1080 4000000A
	ds_read_b32 v65, v10 offset:4288                           // 000000005018: D86C10C0 4100000A
	ds_read_b32 v66, v10 offset:4352                           // 000000005020: D86C1100 4200000A
	ds_read_b32 v67, v10 offset:4416                           // 000000005028: D86C1140 4300000A
	ds_read_b32 v68, v10 offset:4480                           // 000000005030: D86C1180 4400000A
	ds_read_b32 v69, v10 offset:4544                           // 000000005038: D86C11C0 4500000A
	ds_read_b32 v70, v10 offset:4608                           // 000000005040: D86C1200 4600000A
	ds_read_b32 v71, v10 offset:4672                           // 000000005048: D86C1240 4700000A
	ds_read_b32 v72, v10 offset:4736                           // 000000005050: D86C1280 4800000A
	ds_read_b32 v73, v10 offset:4800                           // 000000005058: D86C12C0 4900000A
	ds_read_b32 v74, v10 offset:4864                           // 000000005060: D86C1300 4A00000A
	ds_read_b32 v75, v10 offset:4928                           // 000000005068: D86C1340 4B00000A
	ds_read_b32 v76, v10 offset:4992                           // 000000005070: D86C1380 4C00000A
	ds_read_b32 v77, v10 offset:5056                           // 000000005078: D86C13C0 4D00000A
	ds_read_b32 v78, v10 offset:5120                           // 000000005080: D86C1400 4E00000A
	ds_read_b32 v79, v10 offset:5184                           // 000000005088: D86C1440 4F00000A
	s_waitcnt lgkmcnt(0)                                       // 000000005090: BF8CC07F
	v_mov_b32_e32 v42, 0                                       // 000000005094: 7E540280
	v_add_f32_e32 v42, v64, v42                                // 000000005098: 02545540
	v_add_f32_e32 v42, v65, v42                                // 00000000509C: 02545541
	v_add_f32_e32 v42, v66, v42                                // 0000000050A0: 02545542
	v_add_f32_e32 v42, v67, v42                                // 0000000050A4: 02545543
	v_add_f32_e32 v42, v68, v42                                // 0000000050A8: 02545544
	v_add_f32_e32 v42, v69, v42                                // 0000000050AC: 02545545
	v_add_f32_e32 v42, v70, v42                                // 0000000050B0: 02545546
	v_add_f32_e32 v42, v71, v42                                // 0000000050B4: 02545547
	v_add_f32_e32 v42, v72, v42                                // 0000000050B8: 02545548
	v_add_f32_e32 v42, v73, v42                                // 0000000050BC: 02545549
	v_add_f32_e32 v42, v74, v42                                // 0000000050C0: 0254554A
	v_add_f32_e32 v42, v75, v42                                // 0000000050C4: 0254554B
	v_add_f32_e32 v42, v76, v42                                // 0000000050C8: 0254554C
	v_add_f32_e32 v42, v77, v42                                // 0000000050CC: 0254554D
	v_add_f32_e32 v42, v78, v42                                // 0000000050D0: 0254554E
	v_add_f32_e32 v42, v79, v42                                // 0000000050D4: 0254554F
	s_nop 1                                                    // 0000000050D8: BF800001
	v_mov_b32_dpp v38, v42 row_ror:8 row_mask:0xf bank_mask:0xf// 0000000050DC: 7E4C02FA FF01282A
	v_add_f32_e32 v42, v42, v38                                // 0000000050E4: 02544D2A
	v_rcp_f32_e32 v42, v42                                     // 0000000050E8: 7E54452A
	s_nop 1                                                    // 0000000050EC: BF800001
	v_mul_f32_e32 v112, v42, v112                              // 0000000050F0: 0AE0E12A
	v_mul_f32_e32 v113, v42, v113                              // 0000000050F4: 0AE2E32A
	v_mul_f32_e32 v114, v42, v114                              // 0000000050F8: 0AE4E52A
	v_mul_f32_e32 v115, v42, v115                              // 0000000050FC: 0AE6E72A
	v_cmp_u_f32_e64 s[40:41], v112, v112                       // 000000005100: D0480028 0002E170
	v_add3_u32 v18, v112, v21, 1                               // 000000005108: D1FF0012 02062B70
	v_cndmask_b32_e64 v38, v18, v20, s[40:41]                  // 000000005110: D1000026 00A22912
	v_cmp_u_f32_e64 s[40:41], v113, v113                       // 000000005118: D0480028 0002E371
	v_add3_u32 v18, v113, v21, 1                               // 000000005120: D1FF0012 02062B71
	v_cndmask_b32_e64 v39, v18, v20, s[40:41]                  // 000000005128: D1000027 00A22912
	v_perm_b32 v112, v39, v38, s52                             // 000000005130: D1ED0070 00D24D27
	v_cmp_u_f32_e64 s[40:41], v114, v114                       // 000000005138: D0480028 0002E572
	v_add3_u32 v18, v114, v21, 1                               // 000000005140: D1FF0012 02062B72
	v_cndmask_b32_e64 v38, v18, v20, s[40:41]                  // 000000005148: D1000026 00A22912
	v_cmp_u_f32_e64 s[40:41], v115, v115                       // 000000005150: D0480028 0002E773
	v_add3_u32 v18, v115, v21, 1                               // 000000005158: D1FF0012 02062B73
	v_cndmask_b32_e64 v39, v18, v20, s[40:41]                  // 000000005160: D1000027 00A22912
	v_perm_b32 v113, v39, v38, s52                             // 000000005168: D1ED0071 00D24D27
	s_nop 1                                                    // 000000005170: BF800001
	v_mov_b32_dpp v114, v112 row_shl:8 row_mask:0xf bank_mask:0xf bound_ctrl:1// 000000005174: 7EE402FA FF090870
	v_and_b32_e32 v112, v112, v9                               // 00000000517C: 26E01370
	v_mov_b32_dpp v115, v113 row_shl:8 row_mask:0xf bank_mask:0xf bound_ctrl:1// 000000005180: 7EE602FA FF090871
	v_and_b32_e32 v113, v113, v9                               // 000000005188: 26E21371
	v_lshrrev_b32_e32 v38, 4, v0                               // 00000000518C: 204C0084
	v_mul_i32_i24_e32 v5, 34, v38                              // 000000005190: 0C0A4CA2
	v_and_b32_e32 v38, 15, v0                                  // 000000005194: 264C008F
	v_mul_i32_i24_e32 v39, 2, v38                              // 000000005198: 0C4E4C82
	v_add_u32_e32 v5, v39, v5                                  // 00000000519C: 680A0B27
	s_mul_i32 s60, s7, 0x88                                    // 0000000051A0: 923CFF07 00000088
	v_add_u32_e32 v5, s60, v5                                  // 0000000051A8: 680A0A3C
	v_lshlrev_b32_e32 v5, 2, v5                                // 0000000051AC: 240A0A82
	ds_write_b64 v5, v[112:113] offset:10368                   // 0000000051B0: D89A2880 00007005
	ds_write_b64 v5, v[114:115] offset:12544                   // 0000000051B8: D89A3100 00007205
	v_lshrrev_b32_e32 v38, 1, v0                               // 0000000051C0: 204C0081
	v_mul_i32_i24_e32 v5, 34, v38                              // 0000000051C4: 0C0A4CA2
	v_and_b32_e32 v39, 1, v0                                   // 0000000051C8: 264E0081
	v_add_u32_e32 v5, v39, v5                                  // 0000000051CC: 680A0B27
	s_mul_i32 s60, s7, 2                                       // 0000000051D0: 923C8207
	v_add_u32_e32 v5, s60, v5                                  // 0000000051D4: 680A0A3C
	v_lshlrev_b32_e32 v5, 2, v5                                // 0000000051D8: 240A0A82
	s_waitcnt lgkmcnt(0)                                       // 0000000051DC: BF8CC07F
	s_barrier                                                  // 0000000051E0: BF8A0000
	ds_read_b32 v112, v5 offset:10368                          // 0000000051E4: D86C2880 70000005
	ds_read_b32 v113, v5 offset:10400                          // 0000000051EC: D86C28A0 71000005
	s_waitcnt lgkmcnt(0)                                       // 0000000051F4: BF8CC07F
	buffer_store_dword v112, v8, s[8:11], 0 offen              // 0000000051F8: E0701000 80027008
	buffer_store_dword v113, v8, s[8:11], 0 offen offset:1024  // 000000005200: E0701400 80027108
	s_waitcnt vmcnt(0) expcnt(0) lgkmcnt(0)                    // 000000005208: BF8C0000
	s_endpgm                                                   // 00000000520C: BF810000
